;; amdgpu-corpus repo=ROCm/rocFFT kind=compiled arch=gfx906 opt=O3
	.text
	.amdgcn_target "amdgcn-amd-amdhsa--gfx906"
	.amdhsa_code_object_version 6
	.protected	fft_rtc_fwd_len1445_factors_17_5_17_wgs_85_tpt_85_halfLds_sp_op_CI_CI_sbrr_dirReg ; -- Begin function fft_rtc_fwd_len1445_factors_17_5_17_wgs_85_tpt_85_halfLds_sp_op_CI_CI_sbrr_dirReg
	.globl	fft_rtc_fwd_len1445_factors_17_5_17_wgs_85_tpt_85_halfLds_sp_op_CI_CI_sbrr_dirReg
	.p2align	8
	.type	fft_rtc_fwd_len1445_factors_17_5_17_wgs_85_tpt_85_halfLds_sp_op_CI_CI_sbrr_dirReg,@function
fft_rtc_fwd_len1445_factors_17_5_17_wgs_85_tpt_85_halfLds_sp_op_CI_CI_sbrr_dirReg: ; @fft_rtc_fwd_len1445_factors_17_5_17_wgs_85_tpt_85_halfLds_sp_op_CI_CI_sbrr_dirReg
; %bb.0:
	s_load_dwordx4 s[16:19], s[4:5], 0x18
	s_load_dwordx4 s[12:15], s[4:5], 0x0
	;; [unrolled: 1-line block ×3, first 2 shown]
	v_mul_u32_u24_e32 v1, 0x304, v0
	v_mov_b32_e32 v5, 0
	s_waitcnt lgkmcnt(0)
	s_load_dwordx2 s[20:21], s[16:17], 0x0
	s_load_dwordx2 s[2:3], s[18:19], 0x0
	v_cmp_lt_u64_e64 s[0:1], s[14:15], 2
	v_mov_b32_e32 v39, 0
	v_add_u32_sdwa v7, s6, v1 dst_sel:DWORD dst_unused:UNUSED_PAD src0_sel:DWORD src1_sel:WORD_1
	v_mov_b32_e32 v8, v5
	s_and_b64 vcc, exec, s[0:1]
	v_mov_b32_e32 v40, 0
	s_cbranch_vccnz .LBB0_8
; %bb.1:
	s_load_dwordx2 s[0:1], s[4:5], 0x10
	s_add_u32 s6, s18, 8
	s_addc_u32 s7, s19, 0
	s_add_u32 s22, s16, 8
	s_addc_u32 s23, s17, 0
	v_mov_b32_e32 v39, 0
	s_waitcnt lgkmcnt(0)
	s_add_u32 s24, s0, 8
	v_mov_b32_e32 v40, 0
	v_mov_b32_e32 v1, v39
	s_addc_u32 s25, s1, 0
	s_mov_b64 s[26:27], 1
	v_mov_b32_e32 v2, v40
.LBB0_2:                                ; =>This Inner Loop Header: Depth=1
	s_load_dwordx2 s[28:29], s[24:25], 0x0
                                        ; implicit-def: $vgpr3_vgpr4
	s_waitcnt lgkmcnt(0)
	v_or_b32_e32 v6, s29, v8
	v_cmp_ne_u64_e32 vcc, 0, v[5:6]
	s_and_saveexec_b64 s[0:1], vcc
	s_xor_b64 s[30:31], exec, s[0:1]
	s_cbranch_execz .LBB0_4
; %bb.3:                                ;   in Loop: Header=BB0_2 Depth=1
	v_cvt_f32_u32_e32 v3, s28
	v_cvt_f32_u32_e32 v4, s29
	s_sub_u32 s0, 0, s28
	s_subb_u32 s1, 0, s29
	v_mac_f32_e32 v3, 0x4f800000, v4
	v_rcp_f32_e32 v3, v3
	v_mul_f32_e32 v3, 0x5f7ffffc, v3
	v_mul_f32_e32 v4, 0x2f800000, v3
	v_trunc_f32_e32 v4, v4
	v_mac_f32_e32 v3, 0xcf800000, v4
	v_cvt_u32_f32_e32 v4, v4
	v_cvt_u32_f32_e32 v3, v3
	v_mul_lo_u32 v6, s0, v4
	v_mul_hi_u32 v9, s0, v3
	v_mul_lo_u32 v11, s1, v3
	v_mul_lo_u32 v10, s0, v3
	v_add_u32_e32 v6, v9, v6
	v_add_u32_e32 v6, v6, v11
	v_mul_hi_u32 v9, v3, v10
	v_mul_lo_u32 v11, v3, v6
	v_mul_hi_u32 v13, v3, v6
	v_mul_hi_u32 v12, v4, v10
	v_mul_lo_u32 v10, v4, v10
	v_mul_hi_u32 v14, v4, v6
	v_add_co_u32_e32 v9, vcc, v9, v11
	v_addc_co_u32_e32 v11, vcc, 0, v13, vcc
	v_mul_lo_u32 v6, v4, v6
	v_add_co_u32_e32 v9, vcc, v9, v10
	v_addc_co_u32_e32 v9, vcc, v11, v12, vcc
	v_addc_co_u32_e32 v10, vcc, 0, v14, vcc
	v_add_co_u32_e32 v6, vcc, v9, v6
	v_addc_co_u32_e32 v9, vcc, 0, v10, vcc
	v_add_co_u32_e32 v3, vcc, v3, v6
	v_addc_co_u32_e32 v4, vcc, v4, v9, vcc
	v_mul_lo_u32 v6, s0, v4
	v_mul_hi_u32 v9, s0, v3
	v_mul_lo_u32 v10, s1, v3
	v_mul_lo_u32 v11, s0, v3
	v_add_u32_e32 v6, v9, v6
	v_add_u32_e32 v6, v6, v10
	v_mul_lo_u32 v12, v3, v6
	v_mul_hi_u32 v13, v3, v11
	v_mul_hi_u32 v14, v3, v6
	;; [unrolled: 1-line block ×3, first 2 shown]
	v_mul_lo_u32 v11, v4, v11
	v_mul_hi_u32 v9, v4, v6
	v_add_co_u32_e32 v12, vcc, v13, v12
	v_addc_co_u32_e32 v13, vcc, 0, v14, vcc
	v_mul_lo_u32 v6, v4, v6
	v_add_co_u32_e32 v11, vcc, v12, v11
	v_addc_co_u32_e32 v10, vcc, v13, v10, vcc
	v_addc_co_u32_e32 v9, vcc, 0, v9, vcc
	v_add_co_u32_e32 v6, vcc, v10, v6
	v_addc_co_u32_e32 v9, vcc, 0, v9, vcc
	v_add_co_u32_e32 v6, vcc, v3, v6
	v_addc_co_u32_e32 v9, vcc, v4, v9, vcc
	v_mad_u64_u32 v[3:4], s[0:1], v7, v9, 0
	v_mul_hi_u32 v10, v7, v6
	v_add_co_u32_e32 v11, vcc, v10, v3
	v_addc_co_u32_e32 v12, vcc, 0, v4, vcc
	v_mad_u64_u32 v[3:4], s[0:1], v8, v6, 0
	v_mad_u64_u32 v[9:10], s[0:1], v8, v9, 0
	v_add_co_u32_e32 v3, vcc, v11, v3
	v_addc_co_u32_e32 v3, vcc, v12, v4, vcc
	v_addc_co_u32_e32 v4, vcc, 0, v10, vcc
	v_add_co_u32_e32 v6, vcc, v3, v9
	v_addc_co_u32_e32 v9, vcc, 0, v4, vcc
	v_mul_lo_u32 v10, s29, v6
	v_mul_lo_u32 v11, s28, v9
	v_mad_u64_u32 v[3:4], s[0:1], s28, v6, 0
	v_add3_u32 v4, v4, v11, v10
	v_sub_u32_e32 v10, v8, v4
	v_mov_b32_e32 v11, s29
	v_sub_co_u32_e32 v3, vcc, v7, v3
	v_subb_co_u32_e64 v10, s[0:1], v10, v11, vcc
	v_subrev_co_u32_e64 v11, s[0:1], s28, v3
	v_subbrev_co_u32_e64 v10, s[0:1], 0, v10, s[0:1]
	v_cmp_le_u32_e64 s[0:1], s29, v10
	v_cndmask_b32_e64 v12, 0, -1, s[0:1]
	v_cmp_le_u32_e64 s[0:1], s28, v11
	v_cndmask_b32_e64 v11, 0, -1, s[0:1]
	v_cmp_eq_u32_e64 s[0:1], s29, v10
	v_cndmask_b32_e64 v10, v12, v11, s[0:1]
	v_add_co_u32_e64 v11, s[0:1], 2, v6
	v_addc_co_u32_e64 v12, s[0:1], 0, v9, s[0:1]
	v_add_co_u32_e64 v13, s[0:1], 1, v6
	v_addc_co_u32_e64 v14, s[0:1], 0, v9, s[0:1]
	v_subb_co_u32_e32 v4, vcc, v8, v4, vcc
	v_cmp_ne_u32_e64 s[0:1], 0, v10
	v_cmp_le_u32_e32 vcc, s29, v4
	v_cndmask_b32_e64 v10, v14, v12, s[0:1]
	v_cndmask_b32_e64 v12, 0, -1, vcc
	v_cmp_le_u32_e32 vcc, s28, v3
	v_cndmask_b32_e64 v3, 0, -1, vcc
	v_cmp_eq_u32_e32 vcc, s29, v4
	v_cndmask_b32_e32 v3, v12, v3, vcc
	v_cmp_ne_u32_e32 vcc, 0, v3
	v_cndmask_b32_e64 v3, v13, v11, s[0:1]
	v_cndmask_b32_e32 v4, v9, v10, vcc
	v_cndmask_b32_e32 v3, v6, v3, vcc
.LBB0_4:                                ;   in Loop: Header=BB0_2 Depth=1
	s_andn2_saveexec_b64 s[0:1], s[30:31]
	s_cbranch_execz .LBB0_6
; %bb.5:                                ;   in Loop: Header=BB0_2 Depth=1
	v_cvt_f32_u32_e32 v3, s28
	s_sub_i32 s30, 0, s28
	v_rcp_iflag_f32_e32 v3, v3
	v_mul_f32_e32 v3, 0x4f7ffffe, v3
	v_cvt_u32_f32_e32 v3, v3
	v_mul_lo_u32 v4, s30, v3
	v_mul_hi_u32 v4, v3, v4
	v_add_u32_e32 v3, v3, v4
	v_mul_hi_u32 v3, v7, v3
	v_mul_lo_u32 v4, v3, s28
	v_add_u32_e32 v6, 1, v3
	v_sub_u32_e32 v4, v7, v4
	v_subrev_u32_e32 v9, s28, v4
	v_cmp_le_u32_e32 vcc, s28, v4
	v_cndmask_b32_e32 v4, v4, v9, vcc
	v_cndmask_b32_e32 v3, v3, v6, vcc
	v_add_u32_e32 v6, 1, v3
	v_cmp_le_u32_e32 vcc, s28, v4
	v_cndmask_b32_e32 v3, v3, v6, vcc
	v_mov_b32_e32 v4, v5
.LBB0_6:                                ;   in Loop: Header=BB0_2 Depth=1
	s_or_b64 exec, exec, s[0:1]
	v_mul_lo_u32 v6, v4, s28
	v_mul_lo_u32 v11, v3, s29
	v_mad_u64_u32 v[9:10], s[0:1], v3, s28, 0
	s_load_dwordx2 s[0:1], s[22:23], 0x0
	s_load_dwordx2 s[28:29], s[6:7], 0x0
	v_add3_u32 v6, v10, v11, v6
	v_sub_co_u32_e32 v7, vcc, v7, v9
	v_subb_co_u32_e32 v6, vcc, v8, v6, vcc
	s_waitcnt lgkmcnt(0)
	v_mul_lo_u32 v8, s0, v6
	v_mul_lo_u32 v9, s1, v7
	v_mad_u64_u32 v[39:40], s[0:1], s0, v7, v[39:40]
	v_mul_lo_u32 v6, s28, v6
	v_mul_lo_u32 v10, s29, v7
	v_mad_u64_u32 v[1:2], s[0:1], s28, v7, v[1:2]
	s_add_u32 s26, s26, 1
	s_addc_u32 s27, s27, 0
	s_add_u32 s6, s6, 8
	v_add3_u32 v2, v10, v2, v6
	s_addc_u32 s7, s7, 0
	v_mov_b32_e32 v6, s14
	s_add_u32 s22, s22, 8
	v_mov_b32_e32 v7, s15
	s_addc_u32 s23, s23, 0
	v_cmp_ge_u64_e32 vcc, s[26:27], v[6:7]
	s_add_u32 s24, s24, 8
	v_add3_u32 v40, v9, v40, v8
	s_addc_u32 s25, s25, 0
	s_cbranch_vccnz .LBB0_9
; %bb.7:                                ;   in Loop: Header=BB0_2 Depth=1
	v_mov_b32_e32 v8, v4
	v_mov_b32_e32 v7, v3
	s_branch .LBB0_2
.LBB0_8:
	v_mov_b32_e32 v1, v39
	v_mov_b32_e32 v3, v7
	;; [unrolled: 1-line block ×4, first 2 shown]
.LBB0_9:
	s_load_dwordx2 s[0:1], s[4:5], 0x28
	s_lshl_b64 s[14:15], s[14:15], 3
	s_add_u32 s4, s18, s14
	s_addc_u32 s5, s19, s15
                                        ; implicit-def: $sgpr18_sgpr19
                                        ; implicit-def: $sgpr22
                                        ; implicit-def: $vgpr52
                                        ; implicit-def: $vgpr55
                                        ; implicit-def: $vgpr54
                                        ; implicit-def: $vgpr53
	s_waitcnt lgkmcnt(0)
	v_cmp_gt_u64_e32 vcc, s[0:1], v[3:4]
	v_cmp_le_u64_e64 s[0:1], s[0:1], v[3:4]
	s_and_saveexec_b64 s[6:7], s[0:1]
	s_xor_b64 s[0:1], exec, s[6:7]
; %bb.10:
	s_mov_b32 s6, 0x3030304
	v_mul_hi_u32 v5, v0, s6
	s_mov_b32 s22, 0
	s_mov_b64 s[18:19], 0
                                        ; implicit-def: $vgpr39_vgpr40
	v_mul_u32_u24_e32 v5, 0x55, v5
	v_sub_u32_e32 v52, v0, v5
	v_add_u32_e32 v55, 0x55, v52
	v_add_u32_e32 v54, 0xaa, v52
	v_add_u32_e32 v53, 0xff, v52
                                        ; implicit-def: $vgpr0
; %bb.11:
	s_or_saveexec_b64 s[6:7], s[0:1]
	v_mov_b32_e32 v30, s19
	v_mov_b32_e32 v51, s22
	v_mov_b32_e32 v29, s18
                                        ; implicit-def: $vgpr36
                                        ; implicit-def: $vgpr32
                                        ; implicit-def: $vgpr26
                                        ; implicit-def: $vgpr22
                                        ; implicit-def: $vgpr18
                                        ; implicit-def: $vgpr14
                                        ; implicit-def: $vgpr10
                                        ; implicit-def: $vgpr6
                                        ; implicit-def: $vgpr38
                                        ; implicit-def: $vgpr34
                                        ; implicit-def: $vgpr28
                                        ; implicit-def: $vgpr24
                                        ; implicit-def: $vgpr20
                                        ; implicit-def: $vgpr16
                                        ; implicit-def: $vgpr12
                                        ; implicit-def: $vgpr8
	s_xor_b64 exec, exec, s[6:7]
	s_cbranch_execz .LBB0_13
; %bb.12:
	s_add_u32 s0, s16, s14
	s_mov_b32 s14, 0x3030304
	v_mul_hi_u32 v5, v0, s14
	s_addc_u32 s1, s17, s15
	s_load_dwordx2 s[0:1], s[0:1], 0x0
	v_mul_u32_u24_e32 v5, 0x55, v5
	v_sub_u32_e32 v52, v0, v5
	v_mad_u64_u32 v[5:6], s[14:15], s20, v52, 0
	s_waitcnt lgkmcnt(0)
	v_mul_lo_u32 v11, s1, v3
	v_mul_lo_u32 v12, s0, v4
	v_mad_u64_u32 v[7:8], s[0:1], s0, v3, 0
	v_mov_b32_e32 v0, v6
	v_mad_u64_u32 v[9:10], s[0:1], s21, v52, v[0:1]
	v_add3_u32 v8, v8, v12, v11
	v_lshlrev_b64 v[7:8], 3, v[7:8]
	v_mov_b32_e32 v0, s9
	v_add_co_u32_e64 v11, s[0:1], s8, v7
	v_add_u32_e32 v55, 0x55, v52
	v_mov_b32_e32 v6, v9
	v_addc_co_u32_e64 v0, s[0:1], v0, v8, s[0:1]
	v_mad_u64_u32 v[9:10], s[0:1], s20, v55, 0
	v_lshlrev_b64 v[7:8], 3, v[39:40]
	v_add_u32_e32 v54, 0xaa, v52
	v_add_co_u32_e64 v13, s[0:1], v11, v7
	v_addc_co_u32_e64 v14, s[0:1], v0, v8, s[0:1]
	v_mov_b32_e32 v0, v10
	v_mad_u64_u32 v[11:12], s[0:1], s20, v54, 0
	v_mad_u64_u32 v[7:8], s[0:1], s21, v55, v[0:1]
	v_lshlrev_b64 v[5:6], 3, v[5:6]
	v_mov_b32_e32 v0, v12
	v_add_co_u32_e64 v33, s[0:1], v13, v5
	v_addc_co_u32_e64 v34, s[0:1], v14, v6, s[0:1]
	v_mov_b32_e32 v10, v7
	v_mad_u64_u32 v[7:8], s[0:1], s21, v54, v[0:1]
	v_add_u32_e32 v53, 0xff, v52
	v_lshlrev_b64 v[5:6], 3, v[9:10]
	v_mad_u64_u32 v[8:9], s[0:1], s20, v53, 0
	v_add_co_u32_e64 v37, s[0:1], v13, v5
	v_mov_b32_e32 v0, v9
	v_addc_co_u32_e64 v38, s[0:1], v14, v6, s[0:1]
	v_mov_b32_e32 v12, v7
	v_mad_u64_u32 v[9:10], s[0:1], s21, v53, v[0:1]
	v_add_u32_e32 v7, 0x154, v52
	v_lshlrev_b64 v[5:6], 3, v[11:12]
	v_mad_u64_u32 v[10:11], s[0:1], s20, v7, 0
	v_add_co_u32_e64 v39, s[0:1], v13, v5
	v_mov_b32_e32 v0, v11
	v_addc_co_u32_e64 v40, s[0:1], v14, v6, s[0:1]
	v_lshlrev_b64 v[5:6], 3, v[8:9]
	v_mad_u64_u32 v[7:8], s[0:1], s21, v7, v[0:1]
	v_add_u32_e32 v12, 0x1a9, v52
	v_mad_u64_u32 v[8:9], s[0:1], s20, v12, 0
	v_add_co_u32_e64 v41, s[0:1], v13, v5
	v_mov_b32_e32 v11, v7
	v_mov_b32_e32 v0, v9
	v_addc_co_u32_e64 v42, s[0:1], v14, v6, s[0:1]
	v_lshlrev_b64 v[5:6], 3, v[10:11]
	v_mad_u64_u32 v[9:10], s[0:1], s21, v12, v[0:1]
	v_add_u32_e32 v7, 0x1fe, v52
	v_mad_u64_u32 v[10:11], s[0:1], s20, v7, 0
	v_add_co_u32_e64 v43, s[0:1], v13, v5
	v_mov_b32_e32 v0, v11
	v_addc_co_u32_e64 v44, s[0:1], v14, v6, s[0:1]
	v_lshlrev_b64 v[5:6], 3, v[8:9]
	v_mad_u64_u32 v[7:8], s[0:1], s21, v7, v[0:1]
	v_add_u32_e32 v12, 0x253, v52
	v_mad_u64_u32 v[8:9], s[0:1], s20, v12, 0
	v_add_co_u32_e64 v45, s[0:1], v13, v5
	v_mov_b32_e32 v11, v7
	v_mov_b32_e32 v0, v9
	v_addc_co_u32_e64 v46, s[0:1], v14, v6, s[0:1]
	v_lshlrev_b64 v[5:6], 3, v[10:11]
	v_mad_u64_u32 v[9:10], s[0:1], s21, v12, v[0:1]
	v_add_u32_e32 v7, 0x2a8, v52
	;; [unrolled: 15-line block ×6, first 2 shown]
	v_mad_u64_u32 v[10:11], s[0:1], s20, v7, 0
	v_add_co_u32_e64 v68, s[0:1], v13, v5
	v_mov_b32_e32 v0, v11
	v_addc_co_u32_e64 v69, s[0:1], v14, v6, s[0:1]
	v_lshlrev_b64 v[5:6], 3, v[8:9]
	v_mad_u64_u32 v[7:8], s[0:1], s21, v7, v[0:1]
	v_add_co_u32_e64 v70, s[0:1], v13, v5
	v_mov_b32_e32 v11, v7
	v_addc_co_u32_e64 v71, s[0:1], v14, v6, s[0:1]
	v_lshlrev_b64 v[5:6], 3, v[10:11]
	v_mov_b32_e32 v51, v52
	v_add_co_u32_e64 v72, s[0:1], v13, v5
	v_addc_co_u32_e64 v73, s[0:1], v14, v6, s[0:1]
	global_load_dwordx2 v[29:30], v[33:34], off
	global_load_dwordx2 v[35:36], v[37:38], off
	;; [unrolled: 1-line block ×15, first 2 shown]
                                        ; kill: killed $vgpr60 killed $vgpr61
                                        ; kill: killed $vgpr45 killed $vgpr46
                                        ; kill: killed $vgpr33 killed $vgpr34
                                        ; kill: killed $vgpr64 killed $vgpr65
                                        ; kill: killed $vgpr49 killed $vgpr50
                                        ; kill: killed $vgpr68 killed $vgpr69
                                        ; kill: killed $vgpr58 killed $vgpr59
                                        ; kill: killed $vgpr43 killed $vgpr44
                                        ; kill: killed $vgpr37 killed $vgpr38
                                        ; kill: killed $vgpr62 killed $vgpr63
                                        ; kill: killed $vgpr47 killed $vgpr48
                                        ; kill: killed $vgpr39 killed $vgpr40
                                        ; kill: killed $vgpr66 killed $vgpr67
                                        ; kill: killed $vgpr56 killed $vgpr57
                                        ; kill: killed $vgpr41 killed $vgpr42
	global_load_dwordx2 v[33:34], v[70:71], off
	global_load_dwordx2 v[37:38], v[72:73], off
.LBB0_13:
	s_or_b64 exec, exec, s[6:7]
	s_waitcnt vmcnt(0)
	v_add_f32_e32 v39, v35, v37
	v_mul_f32_e32 v41, 0x3f6eb680, v39
	v_mul_f32_e32 v43, 0x3f3d2fb0, v39
	;; [unrolled: 1-line block ×8, first 2 shown]
	v_sub_f32_e32 v40, v36, v38
	v_mov_b32_e32 v42, v41
	v_mov_b32_e32 v44, v43
	v_mov_b32_e32 v46, v45
	v_mov_b32_e32 v48, v47
	v_mov_b32_e32 v50, v49
	v_mov_b32_e32 v57, v56
	v_mov_b32_e32 v59, v58
	v_mov_b32_e32 v60, v39
	v_fmac_f32_e32 v42, 0x3eb8f4ab, v40
	v_fmac_f32_e32 v41, 0xbeb8f4ab, v40
	;; [unrolled: 1-line block ×16, first 2 shown]
	v_add_f32_e32 v0, v35, v29
	v_add_f32_e32 v42, v42, v29
	;; [unrolled: 1-line block ×18, first 2 shown]
	v_sub_f32_e32 v40, v32, v34
	v_mul_f32_e32 v61, 0x3f3d2fb0, v39
	v_mov_b32_e32 v62, v61
	v_fmac_f32_e32 v61, 0xbf2c7751, v40
	v_fmac_f32_e32 v62, 0x3f2c7751, v40
	v_add_f32_e32 v41, v61, v41
	v_mul_f32_e32 v61, 0x3dbcf732, v39
	v_add_f32_e32 v42, v62, v42
	v_mov_b32_e32 v62, v61
	v_fmac_f32_e32 v61, 0xbf7ee86f, v40
	v_fmac_f32_e32 v62, 0x3f7ee86f, v40
	v_add_f32_e32 v43, v61, v43
	v_mul_f32_e32 v61, 0xbf1a4643, v39
	v_add_f32_e32 v44, v62, v44
	v_mov_b32_e32 v62, v61
	v_fmac_f32_e32 v61, 0xbf4c4adb, v40
	v_fmac_f32_e32 v62, 0x3f4c4adb, v40
	v_add_f32_e32 v45, v61, v45
	v_mul_f32_e32 v61, 0xbf7ba420, v39
	v_add_f32_e32 v46, v62, v46
	v_mov_b32_e32 v62, v61
	v_fmac_f32_e32 v61, 0xbe3c28d5, v40
	v_fmac_f32_e32 v62, 0x3e3c28d5, v40
	v_add_f32_e32 v47, v61, v47
	v_mul_f32_e32 v61, 0xbf59a7d5, v39
	v_add_f32_e32 v48, v62, v48
	v_mov_b32_e32 v62, v61
	v_fmac_f32_e32 v61, 0x3f06c442, v40
	v_fmac_f32_e32 v62, 0xbf06c442, v40
	v_add_f32_e32 v49, v61, v49
	v_mul_f32_e32 v61, 0xbe8c1d8e, v39
	v_add_f32_e32 v50, v62, v50
	v_mov_b32_e32 v62, v61
	v_fmac_f32_e32 v61, 0x3f763a35, v40
	v_fmac_f32_e32 v62, 0xbf763a35, v40
	v_add_f32_e32 v56, v61, v56
	v_mul_f32_e32 v61, 0x3ee437d1, v39
	v_add_f32_e32 v57, v62, v57
	v_mov_b32_e32 v62, v61
	v_fmac_f32_e32 v61, 0x3f65296c, v40
	v_mul_f32_e32 v39, 0x3f6eb680, v39
	v_add_f32_e32 v58, v61, v58
	v_mov_b32_e32 v61, v39
	v_fmac_f32_e32 v39, 0x3eb8f4ab, v40
	v_fmac_f32_e32 v61, 0xbeb8f4ab, v40
	v_add_f32_e32 v29, v39, v29
	v_add_f32_e32 v39, v25, v27
	v_fmac_f32_e32 v62, 0xbf65296c, v40
	v_add_f32_e32 v60, v61, v60
	v_sub_f32_e32 v40, v26, v28
	v_mul_f32_e32 v61, 0x3ee437d1, v39
	v_add_f32_e32 v59, v62, v59
	v_mov_b32_e32 v62, v61
	v_fmac_f32_e32 v61, 0xbf65296c, v40
	v_fmac_f32_e32 v62, 0x3f65296c, v40
	v_add_f32_e32 v41, v61, v41
	v_mul_f32_e32 v61, 0xbf1a4643, v39
	v_add_f32_e32 v42, v62, v42
	v_mov_b32_e32 v62, v61
	v_fmac_f32_e32 v61, 0xbf4c4adb, v40
	v_fmac_f32_e32 v62, 0x3f4c4adb, v40
	v_add_f32_e32 v43, v61, v43
	v_mul_f32_e32 v61, 0xbf7ba420, v39
	v_add_f32_e32 v44, v62, v44
	v_mov_b32_e32 v62, v61
	v_fmac_f32_e32 v61, 0x3e3c28d5, v40
	v_fmac_f32_e32 v62, 0xbe3c28d5, v40
	v_add_f32_e32 v45, v61, v45
	v_mul_f32_e32 v61, 0xbe8c1d8e, v39
	v_add_f32_e32 v46, v62, v46
	v_mov_b32_e32 v62, v61
	v_fmac_f32_e32 v61, 0x3f763a35, v40
	v_fmac_f32_e32 v62, 0xbf763a35, v40
	v_add_f32_e32 v47, v61, v47
	v_mul_f32_e32 v61, 0x3f3d2fb0, v39
	v_add_f32_e32 v48, v62, v48
	v_mov_b32_e32 v62, v61
	v_fmac_f32_e32 v61, 0x3f2c7751, v40
	v_fmac_f32_e32 v62, 0xbf2c7751, v40
	v_add_f32_e32 v49, v61, v49
	v_mul_f32_e32 v61, 0x3f6eb680, v39
	v_add_f32_e32 v50, v62, v50
	v_mov_b32_e32 v62, v61
	v_fmac_f32_e32 v61, 0xbeb8f4ab, v40
	v_fmac_f32_e32 v62, 0x3eb8f4ab, v40
	v_add_f32_e32 v56, v61, v56
	v_mul_f32_e32 v61, 0x3dbcf732, v39
	v_add_f32_e32 v57, v62, v57
	v_mov_b32_e32 v62, v61
	v_fmac_f32_e32 v61, 0xbf7ee86f, v40
	v_mul_f32_e32 v39, 0xbf59a7d5, v39
	v_add_f32_e32 v58, v61, v58
	v_mov_b32_e32 v61, v39
	v_fmac_f32_e32 v39, 0xbf06c442, v40
	v_fmac_f32_e32 v61, 0x3f06c442, v40
	v_add_f32_e32 v29, v39, v29
	v_add_f32_e32 v39, v21, v23
	v_fmac_f32_e32 v62, 0x3f7ee86f, v40
	v_add_f32_e32 v60, v61, v60
	v_sub_f32_e32 v40, v22, v24
	v_mul_f32_e32 v61, 0x3dbcf732, v39
	v_add_f32_e32 v59, v62, v59
	;; [unrolled: 50-line block ×5, first 2 shown]
	v_mov_b32_e32 v62, v61
	v_fmac_f32_e32 v61, 0xbf06c442, v40
	v_fmac_f32_e32 v62, 0x3f06c442, v40
	v_add_f32_e32 v41, v61, v41
	v_mul_f32_e32 v61, 0x3ee437d1, v39
	v_add_f32_e32 v42, v62, v42
	v_mov_b32_e32 v62, v61
	v_fmac_f32_e32 v61, 0x3f65296c, v40
	v_fmac_f32_e32 v62, 0xbf65296c, v40
	v_add_f32_e32 v43, v61, v43
	v_mul_f32_e32 v61, 0x3dbcf732, v39
	v_add_f32_e32 v44, v62, v44
	;; [unrolled: 6-line block ×6, first 2 shown]
	v_mov_b32_e32 v62, v61
	v_fmac_f32_e32 v61, 0x3f2c7751, v40
	v_mul_f32_e32 v39, 0xbe8c1d8e, v39
	v_add_f32_e32 v61, v61, v58
	v_mov_b32_e32 v58, v39
	v_fmac_f32_e32 v62, 0xbf2c7751, v40
	v_fmac_f32_e32 v58, 0x3f763a35, v40
	;; [unrolled: 1-line block ×3, first 2 shown]
	v_add_f32_e32 v40, v5, v7
	v_add_f32_e32 v39, v39, v29
	v_mul_f32_e32 v29, 0xbf7ba420, v40
	v_add_f32_e32 v59, v62, v59
	v_add_f32_e32 v60, v58, v60
	v_sub_f32_e32 v62, v6, v8
	v_mov_b32_e32 v58, v29
	v_fmac_f32_e32 v58, 0x3e3c28d5, v62
	v_fmac_f32_e32 v29, 0xbe3c28d5, v62
	v_add_f32_e32 v0, v31, v0
	v_add_f32_e32 v42, v58, v42
	;; [unrolled: 1-line block ×3, first 2 shown]
	v_mul_f32_e32 v29, 0x3f6eb680, v40
	v_add_f32_e32 v0, v25, v0
	v_mov_b32_e32 v41, v29
	v_fmac_f32_e32 v29, 0x3eb8f4ab, v62
	v_add_f32_e32 v0, v21, v0
	v_fmac_f32_e32 v41, 0xbeb8f4ab, v62
	v_add_f32_e32 v29, v29, v43
	v_mul_f32_e32 v43, 0xbf59a7d5, v40
	v_add_f32_e32 v0, v17, v0
	v_add_f32_e32 v41, v41, v44
	v_mov_b32_e32 v44, v43
	v_fmac_f32_e32 v43, 0xbf06c442, v62
	v_add_f32_e32 v0, v13, v0
	v_fmac_f32_e32 v44, 0x3f06c442, v62
	v_add_f32_e32 v43, v43, v45
	v_mul_f32_e32 v45, 0x3f3d2fb0, v40
	v_add_f32_e32 v0, v9, v0
	;; [unrolled: 8-line block ×5, first 2 shown]
	v_add_f32_e32 v50, v50, v57
	v_mov_b32_e32 v57, v56
	v_add_f32_e32 v0, v27, v0
	v_fmac_f32_e32 v57, 0x3f763a35, v62
	v_mul_f32_e32 v40, 0x3dbcf732, v40
	v_add_f32_e32 v0, v33, v0
	v_add_f32_e32 v57, v57, v59
	v_mov_b32_e32 v59, v40
	s_movk_i32 s0, 0x44
	v_add_f32_e32 v0, v37, v0
	v_fmac_f32_e32 v56, 0xbf763a35, v62
	v_fmac_f32_e32 v59, 0xbf7ee86f, v62
	;; [unrolled: 1-line block ×3, first 2 shown]
	v_mad_u32_u24 v63, v52, s0, 0
	s_load_dwordx2 s[4:5], s[4:5], 0x0
	v_add_f32_e32 v56, v56, v61
	v_add_f32_e32 v59, v59, v60
	;; [unrolled: 1-line block ×3, first 2 shown]
	ds_write2_b32 v63, v0, v42 offset1:1
	ds_write2_b32 v63, v41, v44 offset0:2 offset1:3
	ds_write2_b32 v63, v46, v48 offset0:4 offset1:5
	;; [unrolled: 1-line block ×7, first 2 shown]
	ds_write_b32 v63, v58 offset:64
	v_lshlrev_b32_e32 v0, 6, v52
	v_sub_u32_e32 v59, v63, v0
	v_add_u32_e32 v39, 0x400, v59
	v_add_u32_e32 v41, 0xc00, v59
	;; [unrolled: 1-line block ×3, first 2 shown]
	s_waitcnt lgkmcnt(0)
	s_barrier
	ds_read2_b32 v[45:46], v39 offset0:33 offset1:118
	v_add_u32_e32 v39, 0x600, v59
	ds_read2_b32 v[49:50], v41 offset0:99 offset1:184
	v_add_u32_e32 v41, 0x1000, v59
	v_lshl_add_u32 v56, v55, 2, 0
	ds_read2_b32 v[47:48], v43 offset0:151 offset1:236
	v_add_u32_e32 v43, 0x1200, v59
	ds_read2_b32 v[39:40], v39 offset0:75 offset1:194
	ds_read2_b32 v[41:42], v41 offset0:13 offset1:132
	ds_read_b32 v60, v56
	ds_read2_b32 v[43:44], v43 offset0:89 offset1:174
	v_lshl_add_u32 v57, v54, 2, 0
	ds_read_b32 v62, v59
	ds_read_b32 v61, v57
	v_sub_u32_e32 v0, 0, v0
	s_mov_b32 s16, 0x3f6eb680
	s_mov_b32 s14, 0x3f3d2fb0
	;; [unrolled: 1-line block ×8, first 2 shown]
	v_cmp_gt_u32_e64 s[0:1], 34, v52
	v_add_u32_e32 v0, v63, v0
	v_lshl_add_u32 v59, v53, 2, 0
                                        ; implicit-def: $vgpr64
                                        ; implicit-def: $vgpr65
                                        ; implicit-def: $vgpr66
	s_and_saveexec_b64 s[6:7], s[0:1]
	s_cbranch_execz .LBB0_15
; %bb.14:
	ds_read_b32 v58, v0 offset:2176
	ds_read_b32 v66, v0 offset:3332
	;; [unrolled: 1-line block ×3, first 2 shown]
	ds_read_b32 v29, v59
	ds_read_b32 v64, v0 offset:5644
.LBB0_15:
	s_or_b64 exec, exec, s[6:7]
	v_add_f32_e32 v67, v36, v30
	v_add_f32_e32 v67, v32, v67
	;; [unrolled: 1-line block ×14, first 2 shown]
	v_sub_f32_e32 v35, v35, v37
	v_add_f32_e32 v67, v34, v67
	v_mul_f32_e32 v37, 0xbeb8f4ab, v35
	v_mul_f32_e32 v68, 0xbf2c7751, v35
	;; [unrolled: 1-line block ×8, first 2 shown]
	v_add_f32_e32 v67, v38, v67
	v_add_f32_e32 v36, v36, v38
	v_mov_b32_e32 v38, v37
	v_mov_b32_e32 v69, v68
	;; [unrolled: 1-line block ×8, first 2 shown]
	v_sub_f32_e32 v31, v31, v33
	v_fmac_f32_e32 v38, 0x3f6eb680, v36
	v_fma_f32 v37, v36, s16, -v37
	v_fmac_f32_e32 v69, 0x3f3d2fb0, v36
	v_fma_f32 v68, v36, s14, -v68
	;; [unrolled: 2-line block ×8, first 2 shown]
	v_add_f32_e32 v32, v32, v34
	v_mul_f32_e32 v33, 0xbf2c7751, v31
	v_add_f32_e32 v38, v38, v30
	v_add_f32_e32 v37, v37, v30
	;; [unrolled: 1-line block ×16, first 2 shown]
	v_mov_b32_e32 v34, v33
	v_fma_f32 v33, v32, s14, -v33
	v_mul_f32_e32 v35, 0xbf7ee86f, v31
	v_fmac_f32_e32 v34, 0x3f3d2fb0, v32
	v_add_f32_e32 v33, v33, v37
	v_mov_b32_e32 v36, v35
	v_fma_f32 v35, v32, s8, -v35
	v_mul_f32_e32 v37, 0xbf4c4adb, v31
	v_add_f32_e32 v34, v34, v38
	v_fmac_f32_e32 v36, 0x3dbcf732, v32
	v_add_f32_e32 v35, v35, v68
	v_mov_b32_e32 v38, v37
	v_fma_f32 v37, v32, s17, -v37
	v_mul_f32_e32 v68, 0xbe3c28d5, v31
	v_add_f32_e32 v36, v36, v69
	;; [unrolled: 6-line block ×4, first 2 shown]
	v_add_f32_e32 v70, v70, v74
	v_mov_b32_e32 v73, v72
	v_fma_f32 v72, v32, s15, -v72
	v_mul_f32_e32 v74, 0x3f65296c, v31
	v_mul_f32_e32 v31, 0x3eb8f4ab, v31
	v_sub_f32_e32 v25, v25, v27
	v_fmac_f32_e32 v71, 0xbf59a7d5, v32
	v_add_f32_e32 v72, v72, v76
	v_mov_b32_e32 v76, v31
	v_fma_f32 v31, v32, s16, -v31
	v_add_f32_e32 v26, v26, v28
	v_mul_f32_e32 v27, 0xbf65296c, v25
	v_add_f32_e32 v71, v71, v75
	v_mov_b32_e32 v75, v74
	v_add_f32_e32 v30, v31, v30
	v_mov_b32_e32 v28, v27
	v_fma_f32 v27, v26, s9, -v27
	v_mul_f32_e32 v31, 0xbf4c4adb, v25
	v_fmac_f32_e32 v73, 0xbe8c1d8e, v32
	v_fmac_f32_e32 v75, 0x3ee437d1, v32
	v_fma_f32 v74, v32, s9, -v74
	v_fmac_f32_e32 v76, 0x3f6eb680, v32
	v_fmac_f32_e32 v28, 0x3ee437d1, v26
	v_add_f32_e32 v27, v27, v33
	v_mov_b32_e32 v32, v31
	v_fma_f32 v31, v26, s17, -v31
	v_mul_f32_e32 v33, 0x3e3c28d5, v25
	v_add_f32_e32 v28, v28, v34
	v_fmac_f32_e32 v32, 0xbf1a4643, v26
	v_add_f32_e32 v31, v31, v35
	v_mov_b32_e32 v34, v33
	v_fma_f32 v33, v26, s19, -v33
	v_mul_f32_e32 v35, 0x3f763a35, v25
	v_add_f32_e32 v32, v32, v36
	;; [unrolled: 6-line block ×3, first 2 shown]
	v_fmac_f32_e32 v36, 0xbe8c1d8e, v26
	v_add_f32_e32 v35, v35, v68
	v_mov_b32_e32 v38, v37
	v_fma_f32 v37, v26, s14, -v37
	v_mul_f32_e32 v68, 0xbeb8f4ab, v25
	v_sub_f32_e32 v21, v21, v23
	v_add_f32_e32 v36, v36, v69
	v_fmac_f32_e32 v38, 0x3f3d2fb0, v26
	v_add_f32_e32 v37, v37, v70
	v_mov_b32_e32 v69, v68
	v_fma_f32 v68, v26, s16, -v68
	v_mul_f32_e32 v70, 0xbf7ee86f, v25
	v_mul_f32_e32 v25, 0xbf06c442, v25
	v_mul_f32_e32 v23, 0xbf7ee86f, v21
	v_add_f32_e32 v38, v38, v71
	v_add_f32_e32 v68, v68, v72
	v_mov_b32_e32 v71, v70
	v_mov_b32_e32 v72, v25
	v_add_f32_e32 v22, v22, v24
	v_mov_b32_e32 v24, v23
	v_fmac_f32_e32 v69, 0x3f6eb680, v26
	v_fmac_f32_e32 v71, 0x3dbcf732, v26
	v_fma_f32 v70, v26, s8, -v70
	v_fmac_f32_e32 v72, 0xbf59a7d5, v26
	v_fma_f32 v25, v26, s18, -v25
	v_fmac_f32_e32 v24, 0x3dbcf732, v22
	v_fma_f32 v23, v22, s8, -v23
	v_mul_f32_e32 v26, 0xbe3c28d5, v21
	v_add_f32_e32 v24, v24, v28
	v_add_f32_e32 v23, v23, v27
	v_mov_b32_e32 v27, v26
	v_fma_f32 v26, v22, s19, -v26
	v_mul_f32_e32 v28, 0x3f763a35, v21
	v_add_f32_e32 v25, v25, v30
	v_fmac_f32_e32 v27, 0xbf7ba420, v22
	v_add_f32_e32 v26, v26, v31
	v_mov_b32_e32 v30, v28
	v_fma_f32 v28, v22, s15, -v28
	v_mul_f32_e32 v31, 0x3eb8f4ab, v21
	v_add_f32_e32 v27, v27, v32
	v_fmac_f32_e32 v30, 0xbe8c1d8e, v22
	v_add_f32_e32 v28, v28, v33
	v_mov_b32_e32 v32, v31
	v_fma_f32 v31, v22, s16, -v31
	v_mul_f32_e32 v33, 0xbf65296c, v21
	v_add_f32_e32 v30, v30, v34
	v_fmac_f32_e32 v32, 0x3f6eb680, v22
	v_add_f32_e32 v31, v31, v35
	v_mov_b32_e32 v34, v33
	v_fma_f32 v33, v22, s9, -v33
	v_mul_f32_e32 v35, 0xbf06c442, v21
	v_sub_f32_e32 v17, v17, v19
	v_add_f32_e32 v32, v32, v36
	v_fmac_f32_e32 v34, 0x3ee437d1, v22
	v_add_f32_e32 v33, v33, v37
	v_mov_b32_e32 v36, v35
	v_fma_f32 v35, v22, s18, -v35
	v_mul_f32_e32 v37, 0x3f4c4adb, v21
	v_mul_f32_e32 v21, 0x3f2c7751, v21
	v_mul_f32_e32 v19, 0xbf763a35, v17
	v_add_f32_e32 v34, v34, v38
	v_add_f32_e32 v35, v35, v68
	v_mov_b32_e32 v38, v37
	v_mov_b32_e32 v68, v21
	v_add_f32_e32 v18, v18, v20
	v_mov_b32_e32 v20, v19
	v_fmac_f32_e32 v36, 0xbf59a7d5, v22
	v_fmac_f32_e32 v38, 0xbf1a4643, v22
	v_fma_f32 v37, v22, s17, -v37
	v_fmac_f32_e32 v68, 0x3f3d2fb0, v22
	v_fma_f32 v21, v22, s14, -v21
	v_fmac_f32_e32 v20, 0xbe8c1d8e, v18
	v_fma_f32 v19, v18, s15, -v19
	v_mul_f32_e32 v22, 0x3f06c442, v17
	v_add_f32_e32 v20, v20, v24
	v_add_f32_e32 v19, v19, v23
	v_mov_b32_e32 v23, v22
	v_fma_f32 v22, v18, s18, -v22
	v_mul_f32_e32 v24, 0x3f2c7751, v17
	v_add_f32_e32 v21, v21, v25
	v_fmac_f32_e32 v23, 0xbf59a7d5, v18
	v_add_f32_e32 v22, v22, v26
	v_mov_b32_e32 v25, v24
	v_fma_f32 v24, v18, s14, -v24
	v_mul_f32_e32 v26, 0xbf65296c, v17
	v_add_f32_e32 v23, v23, v27
	v_fmac_f32_e32 v25, 0x3f3d2fb0, v18
	v_add_f32_e32 v24, v24, v28
	v_mov_b32_e32 v27, v26
	v_fma_f32 v26, v18, s9, -v26
	v_mul_f32_e32 v28, 0xbe3c28d5, v17
	v_add_f32_e32 v25, v25, v30
	;; [unrolled: 46-line block ×3, first 2 shown]
	v_fmac_f32_e32 v23, 0xbf59a7d5, v14
	v_add_f32_e32 v22, v22, v26
	v_mov_b32_e32 v25, v24
	v_fma_f32 v24, v14, s8, -v24
	v_mul_f32_e32 v26, 0xbf2c7751, v13
	v_add_f32_e32 v23, v23, v27
	v_fmac_f32_e32 v25, 0x3dbcf732, v14
	v_add_f32_e32 v24, v24, v28
	v_mov_b32_e32 v27, v26
	v_fma_f32 v26, v14, s14, -v26
	v_mul_f32_e32 v28, 0xbe3c28d5, v13
	v_mul_f32_e32 v13, 0x3f65296c, v13
	v_sub_f32_e32 v9, v9, v11
	v_add_f32_e32 v25, v25, v30
	v_add_f32_e32 v26, v26, v31
	v_mov_b32_e32 v30, v28
	v_mov_b32_e32 v31, v13
	v_add_f32_e32 v10, v10, v12
	v_mul_f32_e32 v11, 0xbf06c442, v9
	v_fmac_f32_e32 v27, 0x3f3d2fb0, v14
	v_fmac_f32_e32 v30, 0xbf7ba420, v14
	v_fma_f32 v28, v14, s19, -v28
	v_fmac_f32_e32 v31, 0x3ee437d1, v14
	v_fma_f32 v13, v14, s9, -v13
	v_mov_b32_e32 v12, v11
	v_fma_f32 v11, v10, s18, -v11
	v_mul_f32_e32 v14, 0x3f65296c, v9
	v_fmac_f32_e32 v12, 0xbf59a7d5, v10
	v_add_f32_e32 v11, v11, v15
	v_mov_b32_e32 v15, v14
	v_fma_f32 v14, v10, s9, -v14
	v_add_f32_e32 v12, v12, v16
	v_fmac_f32_e32 v15, 0x3ee437d1, v10
	v_add_f32_e32 v14, v14, v18
	v_mul_f32_e32 v16, 0xbf7ee86f, v9
	v_mul_f32_e32 v18, 0x3f4c4adb, v9
	v_add_f32_e32 v13, v13, v17
	v_add_f32_e32 v15, v15, v19
	v_mov_b32_e32 v17, v16
	v_fma_f32 v16, v10, s8, -v16
	v_mov_b32_e32 v19, v18
	v_fma_f32 v18, v10, s17, -v18
	v_fmac_f32_e32 v17, 0x3dbcf732, v10
	v_add_f32_e32 v16, v16, v20
	v_add_f32_e32 v20, v18, v22
	v_mul_f32_e32 v18, 0xbeb8f4ab, v9
	v_add_f32_e32 v73, v73, v77
	v_add_f32_e32 v74, v74, v78
	;; [unrolled: 1-line block ×3, first 2 shown]
	v_mov_b32_e32 v21, v18
	v_fma_f32 v18, v10, s16, -v18
	v_add_f32_e32 v69, v69, v73
	v_add_f32_e32 v70, v70, v74
	v_fmac_f32_e32 v19, 0xbf1a4643, v10
	v_add_f32_e32 v22, v18, v24
	v_mul_f32_e32 v18, 0xbe3c28d5, v9
	v_add_f32_e32 v76, v76, v80
	v_add_f32_e32 v36, v36, v69
	;; [unrolled: 1-line block ×4, first 2 shown]
	v_mov_b32_e32 v23, v18
	v_fma_f32 v18, v10, s19, -v18
	v_sub_f32_e32 v5, v5, v7
	v_add_f32_e32 v72, v72, v76
	v_add_f32_e32 v32, v32, v36
	;; [unrolled: 1-line block ×3, first 2 shown]
	v_fmac_f32_e32 v21, 0x3f6eb680, v10
	v_add_f32_e32 v24, v18, v26
	v_mul_f32_e32 v18, 0x3f2c7751, v9
	v_add_f32_e32 v6, v6, v8
	v_mul_f32_e32 v7, 0xbe3c28d5, v5
	v_add_f32_e32 v68, v68, v72
	v_add_f32_e32 v27, v27, v32
	;; [unrolled: 1-line block ×4, first 2 shown]
	v_fmac_f32_e32 v23, 0xbf7ba420, v10
	v_mov_b32_e32 v25, v18
	v_fma_f32 v18, v10, s14, -v18
	v_mul_f32_e32 v9, 0xbf763a35, v9
	v_mov_b32_e32 v8, v7
	v_fma_f32 v7, v6, s19, -v7
	v_add_f32_e32 v35, v35, v68
	v_add_f32_e32 v23, v23, v27
	;; [unrolled: 1-line block ×3, first 2 shown]
	v_mov_b32_e32 v18, v9
	v_fmac_f32_e32 v8, 0xbf7ba420, v6
	v_add_f32_e32 v26, v7, v11
	v_mul_f32_e32 v7, 0x3eb8f4ab, v5
	v_add_f32_e32 v75, v75, v79
	v_add_f32_e32 v31, v31, v35
	v_fmac_f32_e32 v25, 0x3f3d2fb0, v10
	v_fmac_f32_e32 v18, 0xbe8c1d8e, v10
	v_fma_f32 v9, v10, s15, -v9
	v_add_f32_e32 v8, v8, v12
	v_mov_b32_e32 v10, v7
	v_fma_f32 v7, v6, s16, -v7
	v_mul_f32_e32 v12, 0x3f2c7751, v5
	v_add_f32_e32 v71, v71, v75
	v_add_f32_e32 v28, v18, v31
	v_add_f32_e32 v9, v9, v13
	v_fmac_f32_e32 v10, 0x3f6eb680, v6
	v_add_f32_e32 v18, v7, v14
	v_mul_f32_e32 v7, 0xbf06c442, v5
	v_mov_b32_e32 v13, v12
	v_mul_f32_e32 v14, 0xbf4c4adb, v5
	v_add_f32_e32 v38, v38, v71
	v_add_f32_e32 v10, v10, v15
	v_mov_b32_e32 v11, v7
	v_fma_f32 v7, v6, s18, -v7
	v_fmac_f32_e32 v13, 0x3f3d2fb0, v6
	v_mov_b32_e32 v15, v14
	v_add_f32_e32 v34, v34, v38
	v_fmac_f32_e32 v11, 0xbf59a7d5, v6
	v_add_f32_e32 v7, v7, v16
	v_add_f32_e32 v13, v13, v19
	v_fma_f32 v12, v6, s14, -v12
	v_fmac_f32_e32 v15, 0xbf1a4643, v6
	v_mul_f32_e32 v16, 0x3f65296c, v5
	v_mul_f32_e32 v19, 0xbf763a35, v5
	;; [unrolled: 1-line block ×3, first 2 shown]
	v_add_f32_e32 v30, v30, v34
	v_add_f32_e32 v11, v11, v17
	v_add_f32_e32 v12, v12, v20
	v_add_f32_e32 v15, v15, v21
	v_mov_b32_e32 v17, v16
	v_mov_b32_e32 v20, v19
	;; [unrolled: 1-line block ×3, first 2 shown]
	v_fma_f32 v5, v6, s8, -v5
	v_add_f32_e32 v25, v25, v30
	v_fma_f32 v14, v6, s17, -v14
	v_fmac_f32_e32 v17, 0x3ee437d1, v6
	v_fma_f32 v16, v6, s9, -v16
	v_fmac_f32_e32 v20, 0xbe8c1d8e, v6
	;; [unrolled: 2-line block ×3, first 2 shown]
	v_add_f32_e32 v5, v5, v9
	v_add_f32_e32 v14, v14, v22
	;; [unrolled: 1-line block ×7, first 2 shown]
	s_waitcnt lgkmcnt(0)
	s_barrier
	ds_write2_b32 v63, v67, v8 offset1:1
	ds_write2_b32 v63, v10, v11 offset0:2 offset1:3
	ds_write2_b32 v63, v13, v15 offset0:4 offset1:5
	ds_write2_b32 v63, v17, v20 offset0:6 offset1:7
	ds_write2_b32 v63, v21, v5 offset0:8 offset1:9
	ds_write2_b32 v63, v19, v16 offset0:10 offset1:11
	ds_write2_b32 v63, v14, v12 offset0:12 offset1:13
	ds_write2_b32 v63, v7, v18 offset0:14 offset1:15
	ds_write_b32 v63, v26 offset:64
	v_add_u32_e32 v5, 0x400, v0
	v_add_u32_e32 v7, 0xc00, v0
	s_waitcnt lgkmcnt(0)
	s_barrier
	ds_read2_b32 v[13:14], v5 offset0:33 offset1:118
	v_add_u32_e32 v5, 0x600, v0
	ds_read2_b32 v[15:16], v7 offset0:99 offset1:184
	v_add_u32_e32 v7, 0x1000, v0
	v_add_u32_e32 v9, 0x800, v0
	ds_read2_b32 v[5:6], v5 offset0:75 offset1:194
	ds_read2_b32 v[7:8], v7 offset0:13 offset1:132
	ds_read_b32 v19, v56
	ds_read2_b32 v[11:12], v9 offset0:151 offset1:236
	v_add_u32_e32 v9, 0x1200, v0
	ds_read2_b32 v[9:10], v9 offset0:89 offset1:174
	ds_read_b32 v21, v0
	ds_read_b32 v20, v57
                                        ; implicit-def: $vgpr67
                                        ; implicit-def: $vgpr30
                                        ; implicit-def: $vgpr28
	s_and_saveexec_b64 s[6:7], s[0:1]
	s_cbranch_execz .LBB0_17
; %bb.16:
	ds_read_b32 v26, v0 offset:2176
	ds_read_b32 v28, v0 offset:3332
	;; [unrolled: 1-line block ×3, first 2 shown]
	ds_read_b32 v18, v59
	ds_read_b32 v67, v0 offset:5644
.LBB0_17:
	s_or_b64 exec, exec, s[6:7]
	s_movk_i32 s6, 0xf1
	v_mul_lo_u16_sdwa v17, v52, s6 dst_sel:DWORD dst_unused:UNUSED_PAD src0_sel:BYTE_0 src1_sel:DWORD
	v_lshrrev_b16_e32 v96, 12, v17
	v_mul_lo_u16_e32 v17, 17, v96
	v_sub_u16_e32 v17, v52, v17
	v_mov_b32_e32 v22, 5
	v_lshlrev_b32_sdwa v23, v22, v17 dst_sel:DWORD dst_unused:UNUSED_PAD src0_sel:DWORD src1_sel:BYTE_0
	global_load_dwordx4 v[31:34], v23, s[12:13]
	global_load_dwordx4 v[68:71], v23, s[12:13] offset:16
	v_mul_lo_u16_sdwa v23, v55, s6 dst_sel:DWORD dst_unused:UNUSED_PAD src0_sel:BYTE_0 src1_sel:DWORD
	v_lshrrev_b16_e32 v97, 12, v23
	v_mul_lo_u16_e32 v23, 17, v97
	v_sub_u16_e32 v23, v55, v23
	v_lshlrev_b32_sdwa v24, v22, v23 dst_sel:DWORD dst_unused:UNUSED_PAD src0_sel:DWORD src1_sel:BYTE_0
	global_load_dwordx4 v[72:75], v24, s[12:13]
	global_load_dwordx4 v[76:79], v24, s[12:13] offset:16
	v_mul_lo_u16_sdwa v24, v54, s6 dst_sel:DWORD dst_unused:UNUSED_PAD src0_sel:BYTE_0 src1_sel:DWORD
	v_lshrrev_b16_e32 v98, 12, v24
	v_mul_lo_u16_e32 v24, 17, v98
	v_sub_u16_e32 v24, v54, v24
	v_lshlrev_b32_sdwa v22, v22, v24 dst_sel:DWORD dst_unused:UNUSED_PAD src0_sel:DWORD src1_sel:BYTE_0
	s_mov_b32 s6, 0xf0f1
	global_load_dwordx4 v[80:83], v22, s[12:13]
	global_load_dwordx4 v[84:87], v22, s[12:13] offset:16
	v_mul_u32_u24_sdwa v22, v53, s6 dst_sel:DWORD dst_unused:UNUSED_PAD src0_sel:WORD_0 src1_sel:DWORD
	v_lshrrev_b32_e32 v22, 20, v22
	v_mul_lo_u16_e32 v25, 17, v22
	v_sub_u16_e32 v99, v53, v25
	v_lshlrev_b32_e32 v25, 5, v99
	global_load_dwordx4 v[88:91], v25, s[12:13]
	global_load_dwordx4 v[92:95], v25, s[12:13] offset:16
	v_mov_b32_e32 v25, 2
	v_lshlrev_b32_sdwa v100, v25, v17 dst_sel:DWORD dst_unused:UNUSED_PAD src0_sel:DWORD src1_sel:BYTE_0
	v_lshlrev_b32_sdwa v101, v25, v23 dst_sel:DWORD dst_unused:UNUSED_PAD src0_sel:DWORD src1_sel:BYTE_0
	;; [unrolled: 1-line block ×3, first 2 shown]
	s_waitcnt vmcnt(0) lgkmcnt(0)
	s_barrier
	v_mul_f32_e32 v37, v13, v32
	v_mul_f32_e32 v53, v45, v32
	;; [unrolled: 1-line block ×6, first 2 shown]
	v_fma_f32 v40, v40, v33, -v32
	v_fma_f32 v49, v49, v68, -v103
	v_mul_f32_e32 v69, v8, v71
	v_mul_f32_e32 v63, v42, v71
	;; [unrolled: 1-line block ×18, first 2 shown]
	v_fmac_f32_e32 v27, v10, v86
	v_add_f32_e32 v10, v40, v49
	v_fmac_f32_e32 v53, v13, v31
	v_fmac_f32_e32 v63, v8, v70
	v_fma_f32 v10, -0.5, v10, v62
	v_fma_f32 v45, v45, v31, -v37
	v_fmac_f32_e32 v54, v6, v33
	v_fmac_f32_e32 v55, v15, v68
	v_fma_f32 v42, v42, v70, -v69
	v_fmac_f32_e32 v36, v16, v76
	v_fmac_f32_e32 v24, v12, v82
	v_sub_f32_e32 v12, v53, v63
	v_mov_b32_e32 v16, v10
	v_fmac_f32_e32 v34, v14, v72
	v_fma_f32 v14, v43, v78, -v77
	v_fma_f32 v6, v39, v80, -v79
	;; [unrolled: 1-line block ×3, first 2 shown]
	v_fmac_f32_e32 v16, 0x3f737871, v12
	v_sub_f32_e32 v39, v54, v55
	v_sub_f32_e32 v41, v45, v40
	;; [unrolled: 1-line block ×3, first 2 shown]
	v_fmac_f32_e32 v10, 0xbf737871, v12
	v_fmac_f32_e32 v38, v9, v78
	v_mul_f32_e32 v9, v30, v93
	v_fmac_f32_e32 v16, 0x3f167918, v39
	v_add_f32_e32 v41, v41, v43
	v_fmac_f32_e32 v10, 0xbf167918, v39
	v_fma_f32 v33, v65, v92, -v9
	v_mul_f32_e32 v9, v67, v95
	v_fmac_f32_e32 v16, 0x3e9e377a, v41
	v_fmac_f32_e32 v10, 0x3e9e377a, v41
	v_add_f32_e32 v41, v45, v42
	v_fma_f32 v37, v64, v94, -v9
	v_add_f32_e32 v9, v62, v45
	v_fmac_f32_e32 v62, -0.5, v41
	v_fma_f32 v13, v47, v74, -v73
	v_fmac_f32_e32 v35, v11, v74
	v_fma_f32 v11, v50, v76, -v75
	v_mov_b32_e32 v43, v62
	v_fmac_f32_e32 v25, v7, v84
	v_fma_f32 v7, v44, v86, -v85
	v_fmac_f32_e32 v43, 0xbf737871, v39
	v_sub_f32_e32 v41, v40, v45
	v_sub_f32_e32 v44, v49, v42
	v_fmac_f32_e32 v62, 0x3f737871, v39
	v_add_f32_e32 v39, v13, v11
	v_fmac_f32_e32 v43, 0x3f167918, v12
	v_add_f32_e32 v41, v41, v44
	v_fmac_f32_e32 v62, 0xbf167918, v12
	v_fma_f32 v39, -0.5, v39, v60
	v_fma_f32 v15, v46, v72, -v71
	v_fmac_f32_e32 v43, 0x3e9e377a, v41
	v_fmac_f32_e32 v62, 0x3e9e377a, v41
	v_sub_f32_e32 v41, v34, v38
	v_mov_b32_e32 v44, v39
	v_fmac_f32_e32 v17, v5, v80
	v_fma_f32 v5, v48, v82, -v81
	v_fmac_f32_e32 v44, 0x3f737871, v41
	v_sub_f32_e32 v46, v35, v36
	v_sub_f32_e32 v47, v15, v13
	;; [unrolled: 1-line block ×3, first 2 shown]
	v_fmac_f32_e32 v39, 0xbf737871, v41
	v_fmac_f32_e32 v44, 0x3f167918, v46
	v_add_f32_e32 v47, v47, v48
	v_fmac_f32_e32 v39, 0xbf167918, v46
	v_fmac_f32_e32 v44, 0x3e9e377a, v47
	;; [unrolled: 1-line block ×3, first 2 shown]
	v_add_f32_e32 v47, v15, v14
	v_add_f32_e32 v12, v60, v15
	v_fmac_f32_e32 v60, -0.5, v47
	v_mov_b32_e32 v47, v60
	v_fmac_f32_e32 v47, 0xbf737871, v46
	v_fmac_f32_e32 v60, 0x3f737871, v46
	;; [unrolled: 1-line block ×4, first 2 shown]
	v_add_f32_e32 v41, v61, v6
	v_add_f32_e32 v41, v41, v5
	v_sub_f32_e32 v48, v13, v15
	v_sub_f32_e32 v50, v11, v14
	v_add_f32_e32 v41, v41, v8
	v_mul_f32_e32 v23, v58, v89
	v_add_f32_e32 v48, v48, v50
	v_add_f32_e32 v46, v41, v7
	;; [unrolled: 1-line block ×3, first 2 shown]
	v_mul_f32_e32 v87, v26, v89
	v_fmac_f32_e32 v23, v26, v88
	v_mul_f32_e32 v26, v66, v91
	v_fmac_f32_e32 v47, 0x3e9e377a, v48
	v_fmac_f32_e32 v60, 0x3e9e377a, v48
	v_fma_f32 v48, -0.5, v41, v61
	v_mul_f32_e32 v89, v28, v91
	v_fmac_f32_e32 v26, v28, v90
	v_mul_f32_e32 v28, v65, v93
	v_sub_f32_e32 v41, v17, v27
	v_mov_b32_e32 v50, v48
	v_fma_f32 v31, v58, v88, -v87
	v_fmac_f32_e32 v28, v30, v92
	v_mul_f32_e32 v30, v64, v95
	v_fmac_f32_e32 v50, 0x3f737871, v41
	v_sub_f32_e32 v58, v24, v25
	v_sub_f32_e32 v64, v6, v5
	;; [unrolled: 1-line block ×3, first 2 shown]
	v_fmac_f32_e32 v48, 0xbf737871, v41
	v_fmac_f32_e32 v50, 0x3f167918, v58
	v_add_f32_e32 v64, v64, v65
	v_fmac_f32_e32 v48, 0xbf167918, v58
	v_fmac_f32_e32 v50, 0x3e9e377a, v64
	;; [unrolled: 1-line block ×3, first 2 shown]
	v_add_f32_e32 v64, v6, v7
	v_fmac_f32_e32 v61, -0.5, v64
	v_mov_b32_e32 v64, v61
	v_add_f32_e32 v9, v9, v40
	v_fmac_f32_e32 v64, 0xbf737871, v58
	v_fmac_f32_e32 v61, 0x3f737871, v58
	v_add_f32_e32 v9, v9, v49
	v_fmac_f32_e32 v64, 0x3f167918, v41
	v_fmac_f32_e32 v61, 0xbf167918, v41
	v_mul_u32_u24_e32 v41, 0x154, v96
	v_add_f32_e32 v9, v9, v42
	v_add_f32_e32 v12, v12, v13
	v_add3_u32 v41, 0, v41, v100
	v_add_f32_e32 v12, v12, v11
	ds_write2_b32 v41, v9, v16 offset1:17
	ds_write2_b32 v41, v43, v62 offset0:34 offset1:51
	ds_write_b32 v41, v10 offset:272
	v_mul_u32_u24_e32 v9, 0x154, v97
	v_fma_f32 v32, v66, v90, -v89
	v_add_f32_e32 v12, v12, v14
	v_sub_f32_e32 v65, v5, v6
	v_sub_f32_e32 v66, v8, v7
	v_add3_u32 v43, 0, v9, v101
	v_mul_u32_u24_e32 v9, 0x154, v98
	v_fmac_f32_e32 v30, v67, v94
	v_add_f32_e32 v65, v65, v66
	ds_write2_b32 v43, v12, v44 offset1:17
	ds_write2_b32 v43, v47, v60 offset0:34 offset1:51
	ds_write_b32 v43, v39 offset:272
	v_add3_u32 v44, 0, v9, v102
	v_lshlrev_b32_e32 v39, 2, v99
	v_fmac_f32_e32 v64, 0x3e9e377a, v65
	v_fmac_f32_e32 v61, 0x3e9e377a, v65
	ds_write2_b32 v44, v46, v50 offset1:17
	ds_write2_b32 v44, v64, v61 offset0:34 offset1:51
	ds_write_b32 v44, v48 offset:272
	s_and_saveexec_b64 s[6:7], s[0:1]
	s_cbranch_execz .LBB0_19
; %bb.18:
	v_sub_f32_e32 v9, v32, v31
	v_sub_f32_e32 v10, v33, v37
	v_add_f32_e32 v9, v9, v10
	v_add_f32_e32 v10, v31, v37
	v_fma_f32 v10, -0.5, v10, v29
	v_sub_f32_e32 v12, v26, v28
	v_mov_b32_e32 v16, v10
	v_fmac_f32_e32 v16, 0x3f737871, v12
	v_sub_f32_e32 v46, v23, v30
	v_fmac_f32_e32 v10, 0xbf737871, v12
	v_fmac_f32_e32 v16, 0xbf167918, v46
	;; [unrolled: 1-line block ×5, first 2 shown]
	v_sub_f32_e32 v9, v31, v32
	v_sub_f32_e32 v47, v37, v33
	v_add_f32_e32 v9, v9, v47
	v_add_f32_e32 v47, v32, v33
	v_fma_f32 v47, -0.5, v47, v29
	v_mov_b32_e32 v48, v47
	v_fmac_f32_e32 v48, 0xbf737871, v46
	v_fmac_f32_e32 v47, 0x3f737871, v46
	;; [unrolled: 1-line block ×6, first 2 shown]
	v_add_f32_e32 v9, v29, v31
	v_add_f32_e32 v9, v9, v32
	v_mul_lo_u16_e32 v12, 0x55, v22
	v_add_f32_e32 v9, v9, v33
	v_lshlrev_b32_e32 v12, 2, v12
	v_add_f32_e32 v9, v9, v37
	v_add3_u32 v12, 0, v39, v12
	ds_write2_b32 v12, v9, v47 offset1:17
	ds_write2_b32 v12, v10, v16 offset0:34 offset1:51
	ds_write_b32 v12, v48 offset:272
.LBB0_19:
	s_or_b64 exec, exec, s[6:7]
	v_add_f32_e32 v9, v21, v53
	v_add_f32_e32 v9, v9, v54
	;; [unrolled: 1-line block ×5, first 2 shown]
	v_fma_f32 v47, -0.5, v9, v21
	v_sub_f32_e32 v9, v45, v42
	v_mov_b32_e32 v42, v47
	v_fmac_f32_e32 v42, 0xbf737871, v9
	v_sub_f32_e32 v10, v40, v49
	v_sub_f32_e32 v12, v53, v54
	;; [unrolled: 1-line block ×3, first 2 shown]
	v_fmac_f32_e32 v47, 0x3f737871, v9
	v_fmac_f32_e32 v42, 0xbf167918, v10
	v_add_f32_e32 v12, v12, v16
	v_fmac_f32_e32 v47, 0x3f167918, v10
	v_fmac_f32_e32 v42, 0x3e9e377a, v12
	;; [unrolled: 1-line block ×3, first 2 shown]
	v_add_f32_e32 v12, v53, v63
	v_fmac_f32_e32 v21, -0.5, v12
	v_mov_b32_e32 v40, v21
	v_fmac_f32_e32 v40, 0x3f737871, v10
	v_fmac_f32_e32 v21, 0xbf737871, v10
	;; [unrolled: 1-line block ×4, first 2 shown]
	v_add_f32_e32 v9, v19, v34
	v_add_f32_e32 v9, v9, v35
	;; [unrolled: 1-line block ×5, first 2 shown]
	v_sub_f32_e32 v12, v54, v53
	v_sub_f32_e32 v16, v55, v63
	v_fma_f32 v48, -0.5, v9, v19
	v_add_f32_e32 v12, v12, v16
	v_sub_f32_e32 v9, v15, v14
	v_mov_b32_e32 v49, v48
	v_fmac_f32_e32 v40, 0x3e9e377a, v12
	v_fmac_f32_e32 v21, 0x3e9e377a, v12
	v_fmac_f32_e32 v49, 0xbf737871, v9
	v_sub_f32_e32 v10, v13, v11
	v_sub_f32_e32 v11, v34, v35
	;; [unrolled: 1-line block ×3, first 2 shown]
	v_fmac_f32_e32 v48, 0x3f737871, v9
	v_fmac_f32_e32 v49, 0xbf167918, v10
	v_add_f32_e32 v11, v11, v12
	v_fmac_f32_e32 v48, 0x3f167918, v10
	v_fmac_f32_e32 v49, 0x3e9e377a, v11
	;; [unrolled: 1-line block ×3, first 2 shown]
	v_add_f32_e32 v11, v34, v38
	v_fmac_f32_e32 v19, -0.5, v11
	v_mov_b32_e32 v50, v19
	v_fmac_f32_e32 v50, 0x3f737871, v10
	v_fmac_f32_e32 v19, 0xbf737871, v10
	;; [unrolled: 1-line block ×4, first 2 shown]
	v_add_f32_e32 v9, v20, v17
	v_add_f32_e32 v9, v9, v24
	;; [unrolled: 1-line block ×3, first 2 shown]
	v_sub_f32_e32 v11, v35, v34
	v_add_f32_e32 v34, v9, v27
	v_add_f32_e32 v9, v24, v25
	v_fma_f32 v35, -0.5, v9, v20
	v_sub_f32_e32 v12, v36, v38
	v_sub_f32_e32 v6, v6, v7
	v_mov_b32_e32 v36, v35
	v_fmac_f32_e32 v36, 0xbf737871, v6
	v_sub_f32_e32 v5, v5, v8
	v_sub_f32_e32 v7, v17, v24
	;; [unrolled: 1-line block ×3, first 2 shown]
	v_fmac_f32_e32 v35, 0x3f737871, v6
	v_fmac_f32_e32 v36, 0xbf167918, v5
	v_add_f32_e32 v7, v7, v8
	v_fmac_f32_e32 v35, 0x3f167918, v5
	v_fmac_f32_e32 v36, 0x3e9e377a, v7
	;; [unrolled: 1-line block ×3, first 2 shown]
	v_add_f32_e32 v7, v17, v27
	v_fmac_f32_e32 v20, -0.5, v7
	v_mov_b32_e32 v38, v20
	v_add_f32_e32 v11, v11, v12
	v_fmac_f32_e32 v38, 0x3f737871, v5
	v_sub_f32_e32 v7, v24, v17
	v_sub_f32_e32 v8, v25, v27
	v_fmac_f32_e32 v20, 0xbf737871, v5
	s_waitcnt lgkmcnt(0)
	s_barrier
	ds_read_b32 v25, v56
	ds_read_b32 v24, v59
	ds_read_b32 v29, v0 offset:5440
	ds_read_b32 v17, v0
	ds_read_b32 v27, v57
	v_add_u32_e32 v5, 0x400, v0
	v_fmac_f32_e32 v50, 0x3e9e377a, v11
	v_fmac_f32_e32 v19, 0x3e9e377a, v11
	;; [unrolled: 1-line block ×3, first 2 shown]
	v_add_f32_e32 v7, v7, v8
	v_fmac_f32_e32 v20, 0x3f167918, v6
	ds_read2_b32 v[11:12], v5 offset0:84 offset1:169
	v_add_u32_e32 v5, 0x600, v0
	v_fmac_f32_e32 v38, 0x3e9e377a, v7
	v_fmac_f32_e32 v20, 0x3e9e377a, v7
	ds_read2_b32 v[7:8], v5 offset0:126 offset1:211
	v_add_u32_e32 v5, 0x800, v0
	v_add_u32_e32 v9, 0xc00, v0
	;; [unrolled: 1-line block ×4, first 2 shown]
	ds_read2_b32 v[5:6], v5 offset0:168 offset1:253
	ds_read2_b32 v[9:10], v9 offset0:82 offset1:167
	;; [unrolled: 1-line block ×4, first 2 shown]
	s_waitcnt lgkmcnt(0)
	s_barrier
	ds_write2_b32 v41, v46, v42 offset1:17
	ds_write2_b32 v41, v40, v21 offset0:34 offset1:51
	ds_write_b32 v41, v47 offset:272
	ds_write2_b32 v43, v45, v49 offset1:17
	ds_write2_b32 v43, v50, v19 offset0:34 offset1:51
	ds_write_b32 v43, v48 offset:272
	;; [unrolled: 3-line block ×3, first 2 shown]
	s_and_saveexec_b64 s[6:7], s[0:1]
	s_cbranch_execz .LBB0_21
; %bb.20:
	v_add_f32_e32 v20, v26, v28
	v_fma_f32 v20, -0.5, v20, v18
	v_sub_f32_e32 v21, v31, v37
	v_mov_b32_e32 v31, v20
	v_fmac_f32_e32 v31, 0xbf737871, v21
	v_sub_f32_e32 v32, v32, v33
	v_sub_f32_e32 v33, v23, v26
	;; [unrolled: 1-line block ×3, first 2 shown]
	v_fmac_f32_e32 v20, 0x3f737871, v21
	v_fmac_f32_e32 v31, 0xbf167918, v32
	v_add_f32_e32 v33, v33, v34
	v_fmac_f32_e32 v20, 0x3f167918, v32
	v_fmac_f32_e32 v31, 0x3e9e377a, v33
	v_fmac_f32_e32 v20, 0x3e9e377a, v33
	v_add_f32_e32 v33, v23, v30
	v_add_f32_e32 v19, v18, v23
	v_fmac_f32_e32 v18, -0.5, v33
	v_mov_b32_e32 v33, v18
	v_fmac_f32_e32 v33, 0x3f737871, v32
	v_fmac_f32_e32 v18, 0xbf737871, v32
	v_add_f32_e32 v19, v19, v26
	v_fmac_f32_e32 v33, 0xbf167918, v21
	v_fmac_f32_e32 v18, 0x3f167918, v21
	v_mul_lo_u16_e32 v21, 0x55, v22
	v_add_f32_e32 v19, v19, v28
	v_sub_f32_e32 v23, v26, v23
	v_sub_f32_e32 v26, v28, v30
	v_lshlrev_b32_e32 v21, 2, v21
	v_add_f32_e32 v19, v19, v30
	v_add_f32_e32 v23, v23, v26
	v_add3_u32 v21, 0, v39, v21
	v_fmac_f32_e32 v33, 0x3e9e377a, v23
	v_fmac_f32_e32 v18, 0x3e9e377a, v23
	ds_write2_b32 v21, v19, v31 offset1:17
	ds_write2_b32 v21, v33, v18 offset0:34 offset1:51
	ds_write_b32 v21, v20 offset:272
.LBB0_21:
	s_or_b64 exec, exec, s[6:7]
	s_waitcnt lgkmcnt(0)
	s_barrier
	s_and_saveexec_b64 s[0:1], vcc
	s_cbranch_execz .LBB0_23
; %bb.22:
	v_lshlrev_b32_e32 v18, 4, v52
	v_mov_b32_e32 v19, 0
	v_lshlrev_b64 v[18:19], 3, v[18:19]
	v_mov_b32_e32 v20, s13
	v_add_co_u32_e32 v34, vcc, s12, v18
	v_addc_co_u32_e32 v35, vcc, v20, v19, vcc
	global_load_dwordx4 v[19:22], v[34:35], off offset:544
	global_load_dwordx4 v[30:33], v[34:35], off offset:656
	;; [unrolled: 1-line block ×6, first 2 shown]
	v_add_u32_e32 v36, 0x1000, v0
	ds_read_b32 v28, v59
	ds_read_b32 v43, v0 offset:5440
	ds_read_b32 v18, v0
	ds_read_b32 v44, v56
	;; [unrolled: 1-line block ×3, first 2 shown]
	v_add_u32_e32 v37, 0x400, v0
	v_add_u32_e32 v38, 0xe00, v0
	ds_read2_b32 v[56:57], v36 offset0:166 offset1:251
	ds_read2_b32 v[59:60], v37 offset0:84 offset1:169
	ds_read2_b32 v[61:62], v38 offset0:124 offset1:209
	global_load_dwordx4 v[77:80], v[34:35], off offset:592
	global_load_dwordx4 v[81:84], v[34:35], off offset:608
	v_mul_lo_u32 v23, s5, v3
	v_mul_lo_u32 v26, s4, v4
	v_mad_u64_u32 v[3:4], s[0:1], s4, v3, 0
	s_mov_b32 s0, 0xbf7ba420
	s_mov_b32 s1, 0x3f6eb680
	v_add3_u32 v4, v4, v26, v23
	s_mov_b32 s4, 0xbf59a7d5
	s_mov_b32 s5, 0x3f3d2fb0
	;; [unrolled: 1-line block ×6, first 2 shown]
	v_lshlrev_b64 v[3:4], 3, v[3:4]
	v_add_co_u32_e32 v3, vcc, s10, v3
	s_waitcnt vmcnt(7) lgkmcnt(4)
	v_mul_f32_e32 v23, v44, v20
	s_waitcnt vmcnt(6)
	v_mul_f32_e32 v26, v43, v33
	v_mul_f32_e32 v34, v29, v33
	;; [unrolled: 1-line block ×3, first 2 shown]
	s_waitcnt lgkmcnt(3)
	v_mul_f32_e32 v20, v50, v22
	s_waitcnt lgkmcnt(2)
	v_mul_f32_e32 v33, v57, v31
	v_fma_f32 v45, v25, v19, -v23
	v_fma_f32 v42, v29, v32, -v26
	v_mul_f32_e32 v35, v16, v31
	v_mul_f32_e32 v39, v27, v22
	s_waitcnt vmcnt(5)
	v_mul_f32_e32 v22, v28, v47
	s_waitcnt vmcnt(4)
	v_mul_f32_e32 v31, v56, v55
	v_mul_f32_e32 v36, v15, v55
	;; [unrolled: 1-line block ×3, first 2 shown]
	s_waitcnt lgkmcnt(1)
	v_mul_f32_e32 v55, v59, v49
	s_waitcnt lgkmcnt(0)
	v_mul_f32_e32 v58, v62, v53
	v_mul_f32_e32 v38, v14, v53
	s_waitcnt vmcnt(3)
	v_mul_f32_e32 v53, v60, v65
	v_fmac_f32_e32 v34, v32, v43
	v_fma_f32 v47, v27, v21, -v20
	v_fma_f32 v43, v16, v30, -v33
	v_sub_f32_e32 v85, v45, v42
	v_mul_f32_e32 v41, v11, v49
	v_fmac_f32_e32 v37, v19, v44
	v_fma_f32 v49, v24, v46, -v22
	v_fma_f32 v44, v15, v54, -v31
	v_fmac_f32_e32 v36, v54, v56
	v_fma_f32 v54, v11, v48, -v55
	v_fma_f32 v55, v12, v64, -v53
	v_sub_f32_e32 v72, v47, v43
	v_mul_f32_e32 v53, 0xbe3c28d5, v85
	v_fmac_f32_e32 v35, v30, v57
	v_fmac_f32_e32 v39, v21, v50
	;; [unrolled: 1-line block ×3, first 2 shown]
	v_fma_f32 v46, v14, v52, -v58
	v_fmac_f32_e32 v38, v52, v62
	v_add_f32_e32 v19, v37, v34
	v_sub_f32_e32 v70, v49, v44
	v_mul_f32_e32 v52, 0x3eb8f4ab, v72
	v_mov_b32_e32 v11, v53
	v_add_f32_e32 v20, v39, v35
	v_sub_f32_e32 v68, v54, v46
	v_mul_f32_e32 v50, 0xbf06c442, v70
	v_mov_b32_e32 v14, v52
	v_fmac_f32_e32 v11, 0xbf7ba420, v19
	v_fmac_f32_e32 v41, v48, v59
	v_add_f32_e32 v21, v40, v36
	v_mul_f32_e32 v48, 0x3f2c7751, v68
	v_mov_b32_e32 v15, v50
	v_fmac_f32_e32 v14, 0x3f6eb680, v20
	v_add_f32_e32 v11, v18, v11
	v_add_f32_e32 v22, v41, v38
	v_mov_b32_e32 v16, v48
	v_fmac_f32_e32 v15, 0xbf59a7d5, v21
	v_add_f32_e32 v11, v11, v14
	v_fmac_f32_e32 v16, 0x3f3d2fb0, v22
	v_add_f32_e32 v11, v11, v15
	s_waitcnt vmcnt(2)
	v_mul_f32_e32 v63, v61, v76
	v_add_f32_e32 v15, v11, v16
	v_add_u32_e32 v11, 0x600, v0
	v_fma_f32 v57, v13, v75, -v63
	v_mul_f32_e32 v59, v13, v76
	v_mul_f32_e32 v62, v12, v65
	ds_read2_b32 v[11:12], v11 offset0:126 offset1:211
	v_add_u32_e32 v13, 0xc00, v0
	v_sub_f32_e32 v86, v55, v57
	ds_read2_b32 v[13:14], v13 offset0:82 offset1:167
	v_mul_f32_e32 v56, 0xbf4c4adb, v86
	v_fmac_f32_e32 v59, v75, v61
	v_fmac_f32_e32 v62, v64, v60
	v_add_f32_e32 v23, v62, v59
	v_mov_b32_e32 v16, v56
	v_fmac_f32_e32 v16, 0xbf1a4643, v23
	v_add_f32_e32 v15, v15, v16
	s_waitcnt lgkmcnt(1)
	v_mul_f32_e32 v16, v11, v67
	v_fma_f32 v63, v7, v66, -v16
	s_waitcnt lgkmcnt(0)
	v_mul_f32_e32 v16, v14, v74
	v_fma_f32 v60, v10, v73, -v16
	v_sub_f32_e32 v76, v63, v60
	v_mul_f32_e32 v65, v10, v74
	v_mul_f32_e32 v67, v7, v67
	;; [unrolled: 1-line block ×3, first 2 shown]
	v_fmac_f32_e32 v65, v73, v14
	v_fmac_f32_e32 v67, v66, v11
	v_add_f32_e32 v24, v67, v65
	v_mov_b32_e32 v7, v58
	v_fmac_f32_e32 v7, 0x3ee437d1, v24
	v_add_f32_e32 v10, v15, v7
	s_waitcnt vmcnt(1)
	v_mul_f32_e32 v7, v12, v78
	v_fma_f32 v66, v8, v77, -v7
	s_waitcnt vmcnt(0)
	v_mul_f32_e32 v7, v13, v84
	v_add_u32_e32 v0, 0x800, v0
	v_fma_f32 v64, v9, v83, -v7
	v_mul_f32_e32 v78, v8, v78
	ds_read2_b32 v[7:8], v0 offset0:168 offset1:253
	v_sub_f32_e32 v87, v66, v64
	v_mul_f32_e32 v84, v9, v84
	v_mul_f32_e32 v61, 0xbf763a35, v87
	v_fmac_f32_e32 v84, v83, v13
	v_fmac_f32_e32 v78, v77, v12
	v_add_f32_e32 v0, v78, v84
	v_mov_b32_e32 v9, v61
	v_fmac_f32_e32 v9, 0xbe8c1d8e, v0
	v_add_f32_e32 v9, v10, v9
	s_waitcnt lgkmcnt(0)
	v_mul_f32_e32 v10, v7, v80
	v_mul_f32_e32 v80, v5, v80
	v_sub_f32_e32 v77, v37, v34
	v_fma_f32 v83, v5, v79, -v10
	v_mul_f32_e32 v10, v8, v82
	v_mul_f32_e32 v82, v6, v82
	v_fmac_f32_e32 v80, v79, v7
	v_add_f32_e32 v25, v45, v42
	v_mul_f32_e32 v69, 0xbe3c28d5, v77
	v_sub_f32_e32 v79, v39, v35
	v_fma_f32 v88, v6, v81, -v10
	v_fmac_f32_e32 v82, v81, v8
	v_fma_f32 v5, v25, s0, -v69
	v_add_f32_e32 v27, v47, v43
	v_mul_f32_e32 v71, 0x3eb8f4ab, v79
	v_sub_f32_e32 v81, v40, v36
	v_add_f32_e32 v5, v17, v5
	v_fma_f32 v6, v27, s1, -v71
	v_add_f32_e32 v28, v49, v44
	v_mul_f32_e32 v73, 0xbf06c442, v81
	v_sub_f32_e32 v89, v41, v38
	v_add_f32_e32 v5, v5, v6
	;; [unrolled: 5-line block ×6, first 2 shown]
	v_fma_f32 v6, v29, s8, -v96
	v_add_f32_e32 v32, v83, v88
	v_mul_f32_e32 v100, 0x3f7ee86f, v99
	v_add_f32_e32 v5, v5, v6
	v_fma_f32 v7, v32, s9, -v100
	v_mul_f32_e32 v101, 0xbf06c442, v85
	v_add_f32_e32 v5, v5, v7
	v_mov_b32_e32 v7, v101
	v_mul_f32_e32 v102, 0x3f65296c, v72
	v_fmac_f32_e32 v7, 0xbf59a7d5, v19
	v_mov_b32_e32 v8, v102
	v_add_f32_e32 v7, v18, v7
	v_fmac_f32_e32 v8, 0x3ee437d1, v20
	v_mul_f32_e32 v103, 0xbf7ee86f, v70
	v_add_f32_e32 v7, v7, v8
	v_mov_b32_e32 v8, v103
	v_fmac_f32_e32 v8, 0x3dbcf732, v21
	v_mul_f32_e32 v104, 0x3f4c4adb, v68
	v_add_f32_e32 v7, v7, v8
	v_mov_b32_e32 v8, v104
	v_fmac_f32_e32 v8, 0xbf1a4643, v22
	v_mul_f32_e32 v105, 0xbeb8f4ab, v86
	v_add_f32_e32 v7, v7, v8
	v_mov_b32_e32 v8, v105
	v_fmac_f32_e32 v8, 0x3f6eb680, v23
	v_mul_f32_e32 v106, 0xbe3c28d5, v76
	v_add_f32_e32 v7, v7, v8
	v_mov_b32_e32 v8, v106
	v_sub_f32_e32 v97, v83, v88
	v_fmac_f32_e32 v8, 0xbf7ba420, v24
	v_mul_f32_e32 v107, 0x3f2c7751, v87
	v_mul_f32_e32 v98, 0x3f7ee86f, v97
	v_add_f32_e32 v7, v7, v8
	v_mov_b32_e32 v8, v107
	v_add_f32_e32 v33, v80, v82
	v_mov_b32_e32 v6, v98
	v_fmac_f32_e32 v8, 0x3f3d2fb0, v0
	v_mul_f32_e32 v108, 0xbf06c442, v77
	v_fmac_f32_e32 v6, 0x3dbcf732, v33
	v_add_f32_e32 v7, v7, v8
	v_fma_f32 v8, v25, s4, -v108
	v_mul_f32_e32 v109, 0x3f65296c, v79
	v_add_f32_e32 v6, v9, v6
	v_add_f32_e32 v8, v17, v8
	v_fma_f32 v9, v27, s7, -v109
	v_mul_f32_e32 v110, 0xbf7ee86f, v81
	v_add_f32_e32 v8, v8, v9
	v_fma_f32 v9, v28, s9, -v110
	v_mul_f32_e32 v111, 0x3f4c4adb, v89
	;; [unrolled: 3-line block ×6, first 2 shown]
	v_add_f32_e32 v9, v8, v9
	v_mov_b32_e32 v8, v115
	v_fmac_f32_e32 v8, 0xbe8c1d8e, v33
	v_mul_f32_e32 v116, 0xbf763a35, v99
	v_add_f32_e32 v8, v7, v8
	v_fma_f32 v7, v32, s8, -v116
	v_mul_f32_e32 v117, 0xbf4c4adb, v85
	v_add_f32_e32 v7, v9, v7
	v_mov_b32_e32 v9, v117
	v_mul_f32_e32 v118, 0x3f763a35, v72
	v_fmac_f32_e32 v9, 0xbf1a4643, v19
	v_mov_b32_e32 v10, v118
	v_add_f32_e32 v9, v18, v9
	v_fmac_f32_e32 v10, 0xbe8c1d8e, v20
	v_mul_f32_e32 v119, 0xbeb8f4ab, v70
	v_add_f32_e32 v9, v9, v10
	v_mov_b32_e32 v10, v119
	v_fmac_f32_e32 v10, 0x3f6eb680, v21
	v_mul_f32_e32 v120, 0xbf06c442, v68
	v_add_f32_e32 v9, v9, v10
	v_mov_b32_e32 v10, v120
	;; [unrolled: 4-line block ×5, first 2 shown]
	v_fmac_f32_e32 v10, 0xbf7ba420, v0
	v_mul_f32_e32 v124, 0xbf4c4adb, v77
	v_add_f32_e32 v9, v9, v10
	v_fma_f32 v10, v25, s6, -v124
	v_mul_f32_e32 v125, 0x3f763a35, v79
	v_add_f32_e32 v10, v17, v10
	v_fma_f32 v11, v27, s8, -v125
	;; [unrolled: 3-line block ×7, first 2 shown]
	v_mul_f32_e32 v131, 0x3f65296c, v97
	v_add_f32_e32 v11, v10, v11
	v_mov_b32_e32 v10, v131
	v_fmac_f32_e32 v10, 0x3ee437d1, v33
	v_mul_f32_e32 v132, 0x3f65296c, v99
	v_add_f32_e32 v10, v9, v10
	v_fma_f32 v9, v32, s7, -v132
	v_mul_f32_e32 v133, 0xbf763a35, v85
	v_add_f32_e32 v37, v37, v18
	v_add_f32_e32 v9, v11, v9
	v_mov_b32_e32 v11, v133
	v_mul_f32_e32 v134, 0x3f06c442, v72
	v_add_f32_e32 v37, v37, v39
	v_fmac_f32_e32 v11, 0xbe8c1d8e, v19
	v_mov_b32_e32 v12, v134
	v_add_f32_e32 v37, v37, v40
	v_add_f32_e32 v11, v18, v11
	v_fmac_f32_e32 v12, 0xbf59a7d5, v20
	v_mul_f32_e32 v135, 0x3f2c7751, v70
	v_add_f32_e32 v37, v37, v41
	v_add_f32_e32 v11, v11, v12
	v_mov_b32_e32 v12, v135
	v_add_f32_e32 v37, v37, v62
	v_fmac_f32_e32 v12, 0x3f3d2fb0, v21
	v_mul_f32_e32 v136, 0xbf65296c, v68
	v_add_f32_e32 v37, v37, v67
	v_add_f32_e32 v11, v11, v12
	v_mov_b32_e32 v12, v136
	;; [unrolled: 6-line block ×5, first 2 shown]
	v_add_f32_e32 v37, v38, v37
	v_fmac_f32_e32 v12, 0x3f6eb680, v0
	v_mul_f32_e32 v140, 0xbf763a35, v77
	v_add_f32_e32 v36, v36, v37
	v_add_f32_e32 v11, v11, v12
	v_fma_f32 v12, v25, s8, -v140
	v_mul_f32_e32 v141, 0x3f06c442, v79
	v_add_f32_e32 v35, v35, v36
	v_add_f32_e32 v36, v17, v45
	v_add_f32_e32 v12, v17, v12
	v_fma_f32 v13, v27, s4, -v141
	v_mul_f32_e32 v142, 0x3f2c7751, v81
	v_add_f32_e32 v36, v36, v47
	v_add_f32_e32 v12, v12, v13
	v_fma_f32 v13, v28, s5, -v142
	v_mul_f32_e32 v143, 0xbf65296c, v89
	v_add_f32_e32 v36, v36, v49
	v_add_f32_e32 v12, v12, v13
	;; [unrolled: 4-line block ×6, first 2 shown]
	v_mov_b32_e32 v12, v147
	v_add_f32_e32 v36, v36, v83
	v_fmac_f32_e32 v12, 0xbf1a4643, v33
	v_mul_f32_e32 v148, 0xbf4c4adb, v99
	v_add_f32_e32 v36, v36, v88
	v_add_f32_e32 v12, v11, v12
	v_fma_f32 v11, v32, s6, -v148
	v_mul_f32_e32 v149, 0xbf7ee86f, v85
	v_add_f32_e32 v36, v64, v36
	v_add_f32_e32 v11, v13, v11
	v_mov_b32_e32 v13, v149
	v_mul_f32_e32 v150, 0xbe3c28d5, v72
	v_add_f32_e32 v36, v60, v36
	v_fmac_f32_e32 v13, 0x3dbcf732, v19
	v_mov_b32_e32 v14, v150
	v_add_f32_e32 v36, v57, v36
	v_add_f32_e32 v13, v18, v13
	v_fmac_f32_e32 v14, 0xbf7ba420, v20
	v_mul_f32_e32 v151, 0x3f763a35, v70
	v_add_f32_e32 v36, v46, v36
	v_add_f32_e32 v13, v13, v14
	v_mov_b32_e32 v14, v151
	v_add_f32_e32 v36, v44, v36
	v_fmac_f32_e32 v14, 0xbe8c1d8e, v21
	v_mul_f32_e32 v152, 0x3eb8f4ab, v68
	v_add_f32_e32 v36, v43, v36
	v_add_f32_e32 v13, v13, v14
	v_mov_b32_e32 v14, v152
	v_add_f32_e32 v35, v34, v35
	v_add_f32_e32 v34, v42, v36
	v_fma_f32 v36, v19, s0, -v53
	v_fmac_f32_e32 v14, 0x3f6eb680, v22
	v_mul_f32_e32 v153, 0xbf65296c, v86
	v_add_f32_e32 v36, v18, v36
	v_fma_f32 v37, v20, s1, -v52
	v_add_f32_e32 v13, v13, v14
	v_mov_b32_e32 v14, v153
	v_add_f32_e32 v36, v36, v37
	v_fma_f32 v37, v21, s4, -v50
	v_fmac_f32_e32 v14, 0x3ee437d1, v23
	v_mul_f32_e32 v154, 0xbf06c442, v76
	v_add_f32_e32 v36, v36, v37
	v_fma_f32 v37, v22, s5, -v48
	v_add_f32_e32 v13, v13, v14
	v_mov_b32_e32 v14, v154
	;; [unrolled: 8-line block ×3, first 2 shown]
	v_add_f32_e32 v36, v36, v37
	v_fma_f32 v37, v0, s8, -v61
	v_fmac_f32_e32 v69, 0xbf7ba420, v25
	v_fmac_f32_e32 v14, 0xbf1a4643, v0
	v_mul_f32_e32 v156, 0xbf7ee86f, v77
	v_add_f32_e32 v36, v36, v37
	v_add_f32_e32 v37, v17, v69
	v_fmac_f32_e32 v71, 0x3f6eb680, v27
	v_add_f32_e32 v13, v13, v14
	v_fma_f32 v14, v25, s9, -v156
	v_mul_f32_e32 v157, 0xbe3c28d5, v79
	v_add_f32_e32 v37, v37, v71
	v_fmac_f32_e32 v73, 0xbf59a7d5, v28
	v_add_f32_e32 v14, v17, v14
	v_fma_f32 v15, v27, s0, -v157
	v_mul_f32_e32 v158, 0x3f763a35, v81
	;; [unrolled: 5-line block ×6, first 2 shown]
	v_add_f32_e32 v38, v37, v96
	v_fma_f32 v37, v33, s9, -v98
	v_fmac_f32_e32 v100, 0x3dbcf732, v32
	v_add_f32_e32 v14, v14, v15
	v_fma_f32 v15, v29, s6, -v162
	v_mul_f32_e32 v163, 0x3f2c7751, v97
	v_add_f32_e32 v37, v36, v37
	v_add_f32_e32 v36, v38, v100
	v_fma_f32 v38, v19, s4, -v101
	v_add_f32_e32 v15, v14, v15
	v_mov_b32_e32 v14, v163
	v_add_f32_e32 v38, v18, v38
	v_fma_f32 v39, v20, s7, -v102
	v_fmac_f32_e32 v14, 0x3f3d2fb0, v33
	v_mul_f32_e32 v164, 0x3f2c7751, v99
	v_add_f32_e32 v38, v38, v39
	v_fma_f32 v39, v21, s9, -v103
	v_add_f32_e32 v14, v13, v14
	v_fma_f32 v13, v32, s5, -v164
	v_mul_f32_e32 v165, 0xbf65296c, v85
	v_add_f32_e32 v38, v38, v39
	v_fma_f32 v39, v22, s6, -v104
	v_add_f32_e32 v13, v15, v13
	v_mov_b32_e32 v15, v165
	v_mul_f32_e32 v166, 0xbf4c4adb, v72
	v_add_f32_e32 v38, v38, v39
	v_fma_f32 v39, v23, s1, -v105
	v_fmac_f32_e32 v15, 0x3ee437d1, v19
	v_mov_b32_e32 v16, v166
	v_add_f32_e32 v38, v38, v39
	v_fma_f32 v39, v24, s0, -v106
	v_add_f32_e32 v15, v18, v15
	v_fmac_f32_e32 v16, 0xbf1a4643, v20
	v_mul_f32_e32 v167, 0x3e3c28d5, v70
	v_add_f32_e32 v38, v38, v39
	v_fma_f32 v39, v0, s5, -v107
	v_fmac_f32_e32 v108, 0xbf59a7d5, v25
	v_add_f32_e32 v15, v15, v16
	v_mov_b32_e32 v16, v167
	v_add_f32_e32 v38, v38, v39
	v_add_f32_e32 v39, v17, v108
	v_fmac_f32_e32 v109, 0x3ee437d1, v27
	v_fmac_f32_e32 v16, 0xbf7ba420, v21
	v_mul_f32_e32 v168, 0x3f763a35, v68
	v_add_f32_e32 v39, v39, v109
	v_fmac_f32_e32 v110, 0x3dbcf732, v28
	v_add_f32_e32 v15, v15, v16
	v_mov_b32_e32 v16, v168
	v_add_f32_e32 v39, v39, v110
	v_fmac_f32_e32 v111, 0xbf1a4643, v30
	v_fmac_f32_e32 v16, 0xbe8c1d8e, v22
	v_mul_f32_e32 v169, 0x3f2c7751, v86
	v_add_f32_e32 v39, v39, v111
	v_fmac_f32_e32 v112, 0x3f6eb680, v31
	v_add_f32_e32 v15, v15, v16
	v_mov_b32_e32 v16, v169
	v_add_f32_e32 v39, v39, v112
	v_fmac_f32_e32 v113, 0xbf7ba420, v26
	v_fmac_f32_e32 v16, 0x3f3d2fb0, v23
	v_mul_f32_e32 v170, 0xbeb8f4ab, v76
	v_add_f32_e32 v39, v39, v113
	v_fmac_f32_e32 v114, 0x3f3d2fb0, v29
	v_add_f32_e32 v15, v15, v16
	v_mov_b32_e32 v16, v170
	v_add_f32_e32 v40, v39, v114
	v_fma_f32 v39, v33, s8, -v115
	v_fmac_f32_e32 v116, 0xbe8c1d8e, v32
	v_fmac_f32_e32 v16, 0x3f6eb680, v24
	v_mul_f32_e32 v171, 0xbf7ee86f, v87
	v_add_f32_e32 v39, v38, v39
	v_add_f32_e32 v38, v40, v116
	v_fma_f32 v40, v19, s6, -v117
	v_add_f32_e32 v15, v15, v16
	v_mov_b32_e32 v16, v171
	v_add_f32_e32 v40, v18, v40
	v_fma_f32 v41, v20, s8, -v118
	v_fmac_f32_e32 v16, 0x3dbcf732, v0
	v_mul_f32_e32 v172, 0xbf65296c, v77
	v_add_f32_e32 v40, v40, v41
	v_fma_f32 v41, v21, s1, -v119
	v_add_f32_e32 v15, v15, v16
	v_fma_f32 v16, v25, s7, -v172
	v_mul_f32_e32 v173, 0xbf4c4adb, v79
	v_add_f32_e32 v40, v40, v41
	v_fma_f32 v41, v22, s4, -v120
	v_add_f32_e32 v16, v17, v16
	v_fma_f32 v74, v27, s6, -v173
	;; [unrolled: 5-line block ×4, first 2 shown]
	v_mul_f32_e32 v176, 0x3f2c7751, v91
	v_add_f32_e32 v40, v40, v41
	v_fma_f32 v41, v0, s0, -v123
	v_fmac_f32_e32 v124, 0xbf1a4643, v25
	v_add_f32_e32 v16, v16, v74
	v_fma_f32 v74, v31, s5, -v176
	v_mul_f32_e32 v177, 0xbeb8f4ab, v93
	v_add_f32_e32 v40, v40, v41
	v_add_f32_e32 v41, v17, v124
	v_fmac_f32_e32 v125, 0xbe8c1d8e, v27
	v_add_f32_e32 v16, v16, v74
	v_fma_f32 v74, v26, s1, -v177
	v_mul_f32_e32 v178, 0xbf7ee86f, v95
	v_add_f32_e32 v41, v41, v125
	v_fmac_f32_e32 v126, 0x3f6eb680, v28
	v_add_f32_e32 v16, v16, v74
	v_fma_f32 v74, v29, s9, -v178
	v_mul_f32_e32 v179, 0xbf06c442, v97
	v_add_f32_e32 v41, v41, v126
	v_fmac_f32_e32 v127, 0xbf59a7d5, v30
	v_add_f32_e32 v74, v16, v74
	v_mov_b32_e32 v16, v179
	v_add_f32_e32 v41, v41, v127
	v_fmac_f32_e32 v128, 0x3dbcf732, v31
	v_fmac_f32_e32 v16, 0xbf59a7d5, v33
	v_mul_f32_e32 v180, 0xbf06c442, v99
	v_add_f32_e32 v41, v41, v128
	v_fmac_f32_e32 v129, 0x3f3d2fb0, v26
	v_add_f32_e32 v16, v15, v16
	v_fma_f32 v15, v32, s4, -v180
	v_mul_f32_e32 v181, 0xbf2c7751, v85
	v_add_f32_e32 v41, v41, v129
	v_fmac_f32_e32 v130, 0xbf7ba420, v29
	v_add_f32_e32 v15, v74, v15
	v_mov_b32_e32 v74, v181
	v_mul_f32_e32 v182, 0xbf7ee86f, v72
	v_add_f32_e32 v42, v41, v130
	v_fma_f32 v41, v33, s7, -v131
	v_fmac_f32_e32 v132, 0x3ee437d1, v32
	v_fmac_f32_e32 v74, 0x3f3d2fb0, v19
	v_mov_b32_e32 v75, v182
	v_add_f32_e32 v41, v40, v41
	v_add_f32_e32 v40, v42, v132
	v_fma_f32 v42, v19, s8, -v133
	v_add_f32_e32 v74, v18, v74
	v_fmac_f32_e32 v75, 0x3dbcf732, v20
	v_mul_f32_e32 v183, 0xbf4c4adb, v70
	v_add_f32_e32 v42, v18, v42
	v_fma_f32 v43, v20, s4, -v134
	v_add_f32_e32 v74, v74, v75
	v_mov_b32_e32 v75, v183
	v_add_f32_e32 v42, v42, v43
	v_fma_f32 v43, v21, s5, -v135
	v_fmac_f32_e32 v75, 0xbf1a4643, v21
	v_mul_f32_e32 v184, 0xbe3c28d5, v68
	v_add_f32_e32 v42, v42, v43
	v_fma_f32 v43, v22, s7, -v136
	v_add_f32_e32 v74, v74, v75
	v_mov_b32_e32 v75, v184
	v_add_f32_e32 v42, v42, v43
	v_fma_f32 v43, v23, s0, -v137
	;; [unrolled: 8-line block ×3, first 2 shown]
	v_fmac_f32_e32 v140, 0xbe8c1d8e, v25
	v_fmac_f32_e32 v75, 0xbf59a7d5, v23
	v_mul_f32_e32 v186, 0x3f763a35, v76
	v_add_f32_e32 v42, v42, v43
	v_add_f32_e32 v43, v17, v140
	v_fmac_f32_e32 v141, 0xbf59a7d5, v27
	v_add_f32_e32 v74, v74, v75
	v_mov_b32_e32 v75, v186
	v_add_f32_e32 v43, v43, v141
	v_fmac_f32_e32 v142, 0x3f3d2fb0, v28
	v_fmac_f32_e32 v75, 0xbe8c1d8e, v24
	v_mul_f32_e32 v187, 0x3f65296c, v87
	v_add_f32_e32 v43, v43, v142
	v_fmac_f32_e32 v143, 0x3ee437d1, v30
	v_add_f32_e32 v74, v74, v75
	v_mov_b32_e32 v75, v187
	v_add_f32_e32 v43, v43, v143
	v_fmac_f32_e32 v144, 0xbf7ba420, v31
	v_fmac_f32_e32 v75, 0x3ee437d1, v0
	v_mul_f32_e32 v188, 0xbf2c7751, v77
	v_add_f32_e32 v43, v43, v144
	v_fmac_f32_e32 v145, 0x3dbcf732, v26
	v_add_f32_e32 v74, v74, v75
	v_fma_f32 v75, v25, s5, -v188
	v_mul_f32_e32 v189, 0xbf7ee86f, v79
	v_add_f32_e32 v43, v43, v145
	v_fmac_f32_e32 v146, 0x3f6eb680, v29
	v_add_f32_e32 v75, v17, v75
	v_fma_f32 v190, v27, s9, -v189
	v_add_f32_e32 v44, v43, v146
	v_fma_f32 v43, v33, s6, -v147
	v_fmac_f32_e32 v148, 0xbf1a4643, v32
	v_add_f32_e32 v75, v75, v190
	v_mul_f32_e32 v190, 0xbf4c4adb, v81
	v_add_f32_e32 v43, v42, v43
	v_add_f32_e32 v42, v44, v148
	v_fma_f32 v44, v19, s9, -v149
	v_fma_f32 v191, v28, s6, -v190
	v_add_f32_e32 v44, v18, v44
	v_fma_f32 v45, v20, s0, -v150
	v_add_f32_e32 v75, v75, v191
	v_mul_f32_e32 v191, 0xbe3c28d5, v89
	v_add_f32_e32 v44, v44, v45
	v_fma_f32 v45, v21, s8, -v151
	v_fma_f32 v192, v30, s0, -v191
	v_add_f32_e32 v44, v44, v45
	v_fma_f32 v45, v22, s1, -v152
	v_add_f32_e32 v75, v75, v192
	v_mul_f32_e32 v192, 0x3f06c442, v91
	;; [unrolled: 7-line block ×3, first 2 shown]
	v_add_f32_e32 v44, v44, v45
	v_fma_f32 v45, v0, s6, -v155
	v_fmac_f32_e32 v156, 0x3dbcf732, v25
	v_fma_f32 v194, v26, s8, -v193
	v_add_f32_e32 v44, v44, v45
	v_add_f32_e32 v45, v17, v156
	v_fmac_f32_e32 v157, 0xbf7ba420, v27
	v_add_f32_e32 v75, v75, v194
	v_mul_f32_e32 v194, 0x3f65296c, v95
	v_add_f32_e32 v45, v45, v157
	v_fmac_f32_e32 v158, 0xbe8c1d8e, v28
	v_fma_f32 v195, v29, s7, -v194
	v_mul_f32_e32 v196, 0x3eb8f4ab, v97
	v_add_f32_e32 v45, v45, v158
	v_fmac_f32_e32 v159, 0x3f6eb680, v30
	v_add_f32_e32 v195, v75, v195
	v_mov_b32_e32 v75, v196
	v_add_f32_e32 v45, v45, v159
	v_fmac_f32_e32 v160, 0x3ee437d1, v31
	v_fmac_f32_e32 v75, 0x3f6eb680, v33
	v_mul_f32_e32 v197, 0x3eb8f4ab, v99
	v_add_f32_e32 v45, v45, v160
	v_fmac_f32_e32 v161, 0xbf59a7d5, v26
	v_add_f32_e32 v75, v74, v75
	v_fma_f32 v74, v32, s1, -v197
	v_mul_f32_e32 v85, 0xbeb8f4ab, v85
	v_add_f32_e32 v45, v45, v161
	v_fmac_f32_e32 v162, 0xbf1a4643, v29
	v_add_f32_e32 v74, v195, v74
	v_mov_b32_e32 v195, v85
	v_mul_f32_e32 v72, 0xbf2c7751, v72
	v_add_f32_e32 v46, v45, v162
	v_fma_f32 v45, v33, s5, -v163
	v_fmac_f32_e32 v164, 0x3f3d2fb0, v32
	v_fmac_f32_e32 v195, 0x3f6eb680, v19
	v_mov_b32_e32 v198, v72
	v_add_f32_e32 v45, v44, v45
	v_add_f32_e32 v44, v46, v164
	v_fma_f32 v46, v19, s7, -v165
	v_add_f32_e32 v195, v18, v195
	v_fmac_f32_e32 v198, 0x3f3d2fb0, v20
	v_mul_f32_e32 v70, 0xbf65296c, v70
	v_add_f32_e32 v46, v18, v46
	v_fma_f32 v47, v20, s6, -v166
	v_add_f32_e32 v195, v195, v198
	v_mov_b32_e32 v198, v70
	v_add_f32_e32 v46, v46, v47
	v_fma_f32 v47, v21, s0, -v167
	v_fmac_f32_e32 v198, 0x3ee437d1, v21
	v_mul_f32_e32 v68, 0xbf7ee86f, v68
	v_add_f32_e32 v46, v46, v47
	v_fma_f32 v47, v22, s8, -v168
	v_add_f32_e32 v195, v195, v198
	v_mov_b32_e32 v198, v68
	v_add_f32_e32 v46, v46, v47
	v_fma_f32 v47, v23, s5, -v169
	;; [unrolled: 8-line block ×3, first 2 shown]
	v_fmac_f32_e32 v172, 0x3ee437d1, v25
	v_fmac_f32_e32 v198, 0xbe8c1d8e, v23
	v_add_f32_e32 v46, v46, v47
	v_add_f32_e32 v47, v17, v172
	v_fmac_f32_e32 v173, 0xbf1a4643, v27
	v_add_f32_e32 v195, v195, v198
	v_mul_f32_e32 v198, 0xbf4c4adb, v76
	v_add_f32_e32 v47, v47, v173
	v_fmac_f32_e32 v174, 0xbf7ba420, v28
	v_mov_b32_e32 v76, v198
	v_add_f32_e32 v47, v47, v174
	v_fmac_f32_e32 v175, 0xbe8c1d8e, v30
	v_fmac_f32_e32 v76, 0xbf1a4643, v24
	v_mul_f32_e32 v87, 0xbf06c442, v87
	v_add_f32_e32 v47, v47, v175
	v_fmac_f32_e32 v176, 0x3f3d2fb0, v31
	v_add_f32_e32 v76, v195, v76
	v_mov_b32_e32 v195, v87
	v_add_f32_e32 v47, v47, v176
	v_fmac_f32_e32 v177, 0x3f6eb680, v26
	v_fmac_f32_e32 v195, 0xbf59a7d5, v0
	v_add_f32_e32 v47, v47, v177
	v_fmac_f32_e32 v178, 0x3dbcf732, v29
	v_add_f32_e32 v76, v76, v195
	v_mul_f32_e32 v195, 0xbeb8f4ab, v77
	v_add_f32_e32 v48, v47, v178
	v_fma_f32 v47, v33, s4, -v179
	v_fmac_f32_e32 v180, 0xbf59a7d5, v32
	v_fma_f32 v77, v25, s1, -v195
	v_mul_f32_e32 v79, 0xbf2c7751, v79
	v_add_f32_e32 v47, v46, v47
	v_add_f32_e32 v46, v48, v180
	v_fma_f32 v48, v19, s5, -v181
	v_fma_f32 v19, v19, s1, -v85
	v_add_f32_e32 v77, v17, v77
	v_fma_f32 v199, v27, s5, -v79
	v_mul_f32_e32 v81, 0xbf65296c, v81
	v_add_f32_e32 v48, v18, v48
	v_fma_f32 v49, v20, s9, -v182
	v_add_f32_e32 v18, v18, v19
	v_fma_f32 v19, v20, s5, -v72
	v_add_f32_e32 v77, v77, v199
	v_fma_f32 v199, v28, s7, -v81
	v_mul_f32_e32 v89, 0xbf7ee86f, v89
	v_add_f32_e32 v48, v48, v49
	v_fma_f32 v49, v21, s6, -v183
	v_add_f32_e32 v18, v18, v19
	v_fma_f32 v19, v21, s7, -v70
	v_add_f32_e32 v77, v77, v199
	v_fma_f32 v199, v30, s9, -v89
	v_mul_f32_e32 v91, 0xbf763a35, v91
	v_add_f32_e32 v48, v48, v49
	v_fma_f32 v49, v22, s0, -v184
	v_add_f32_e32 v18, v18, v19
	v_fma_f32 v19, v22, s9, -v68
	v_add_f32_e32 v77, v77, v199
	v_fma_f32 v199, v31, s8, -v91
	v_mul_f32_e32 v93, 0xbf4c4adb, v93
	v_add_f32_e32 v48, v48, v49
	v_fma_f32 v49, v23, s4, -v185
	v_add_f32_e32 v18, v18, v19
	v_fma_f32 v19, v23, s8, -v86
	v_add_f32_e32 v77, v77, v199
	v_fma_f32 v199, v26, s6, -v93
	v_mul_f32_e32 v95, 0xbf06c442, v95
	v_add_f32_e32 v48, v48, v49
	v_fma_f32 v49, v24, s8, -v186
	v_add_f32_e32 v18, v18, v19
	v_fma_f32 v19, v24, s6, -v198
	v_add_f32_e32 v77, v77, v199
	v_fma_f32 v199, v29, s4, -v95
	v_mul_f32_e32 v97, 0xbe3c28d5, v97
	v_add_f32_e32 v48, v48, v49
	v_fma_f32 v49, v0, s7, -v187
	v_add_f32_e32 v18, v18, v19
	v_fma_f32 v0, v0, s4, -v87
	v_add_f32_e32 v199, v77, v199
	v_mov_b32_e32 v77, v97
	v_add_f32_e32 v0, v18, v0
	v_fma_f32 v18, v33, s0, -v97
	v_fmac_f32_e32 v195, 0x3f6eb680, v25
	v_fmac_f32_e32 v77, 0xbf7ba420, v33
	v_mul_f32_e32 v99, 0xbe3c28d5, v99
	v_add_f32_e32 v18, v0, v18
	v_add_f32_e32 v0, v17, v195
	v_fmac_f32_e32 v79, 0x3f3d2fb0, v27
	v_add_f32_e32 v77, v76, v77
	v_fma_f32 v76, v32, s0, -v99
	v_add_f32_e32 v48, v48, v49
	v_fma_f32 v49, v33, s1, -v196
	v_add_f32_e32 v0, v0, v79
	v_fmac_f32_e32 v81, 0x3ee437d1, v28
	v_mad_u64_u32 v[19:20], s[0:1], s2, v51, 0
	v_add_f32_e32 v0, v0, v81
	v_fmac_f32_e32 v89, 0x3dbcf732, v30
	v_add_f32_e32 v0, v0, v89
	v_fmac_f32_e32 v91, 0xbe8c1d8e, v31
	v_fmac_f32_e32 v188, 0x3f3d2fb0, v25
	v_add_f32_e32 v0, v0, v91
	v_fmac_f32_e32 v93, 0xbf1a4643, v26
	v_add_f32_e32 v49, v48, v49
	v_add_f32_e32 v48, v17, v188
	;; [unrolled: 1-line block ×3, first 2 shown]
	v_fmac_f32_e32 v95, 0xbf59a7d5, v29
	v_mov_b32_e32 v0, v20
	v_mad_u64_u32 v[20:21], s[0:1], s3, v51, v[0:1]
	v_add_f32_e32 v0, v17, v95
	v_fmac_f32_e32 v99, 0xbf7ba420, v32
	v_add_f32_e32 v17, v0, v99
	v_mov_b32_e32 v0, s11
	v_addc_co_u32_e32 v4, vcc, v0, v4, vcc
	v_lshlrev_b64 v[0:1], 3, v[1:2]
	v_add_f32_e32 v76, v199, v76
	v_add_co_u32_e32 v21, vcc, v3, v0
	v_addc_co_u32_e32 v22, vcc, v4, v1, vcc
	v_add_u32_e32 v4, 0x55, v51
	v_mad_u64_u32 v[2:3], s[0:1], s2, v4, 0
	v_lshlrev_b64 v[0:1], 3, v[19:20]
	v_fmac_f32_e32 v189, 0x3dbcf732, v27
	v_mad_u64_u32 v[3:4], s[0:1], s3, v4, v[3:4]
	v_add_u32_e32 v4, 0xaa, v51
	v_mad_u64_u32 v[19:20], s[0:1], s2, v4, 0
	v_add_co_u32_e32 v0, vcc, v21, v0
	v_addc_co_u32_e32 v1, vcc, v22, v1, vcc
	global_store_dwordx2 v[0:1], v[34:35], off
	v_lshlrev_b64 v[0:1], 3, v[2:3]
	v_mov_b32_e32 v2, v20
	v_mad_u64_u32 v[2:3], s[0:1], s3, v4, v[2:3]
	v_add_u32_e32 v4, 0xff, v51
	v_add_co_u32_e32 v0, vcc, v21, v0
	v_mov_b32_e32 v20, v2
	v_mad_u64_u32 v[2:3], s[0:1], s2, v4, 0
	v_addc_co_u32_e32 v1, vcc, v22, v1, vcc
	v_mad_u64_u32 v[3:4], s[0:1], s3, v4, v[3:4]
	v_add_u32_e32 v4, 0x154, v51
	global_store_dwordx2 v[0:1], v[76:77], off
	v_lshlrev_b64 v[0:1], 3, v[19:20]
	v_mad_u64_u32 v[19:20], s[0:1], s2, v4, 0
	v_add_co_u32_e32 v0, vcc, v21, v0
	v_addc_co_u32_e32 v1, vcc, v22, v1, vcc
	global_store_dwordx2 v[0:1], v[74:75], off
	v_lshlrev_b64 v[0:1], 3, v[2:3]
	v_mov_b32_e32 v2, v20
	v_mad_u64_u32 v[2:3], s[0:1], s3, v4, v[2:3]
	v_add_u32_e32 v4, 0x1a9, v51
	v_add_co_u32_e32 v0, vcc, v21, v0
	v_mov_b32_e32 v20, v2
	v_mad_u64_u32 v[2:3], s[0:1], s2, v4, 0
	v_addc_co_u32_e32 v1, vcc, v22, v1, vcc
	v_mad_u64_u32 v[3:4], s[0:1], s3, v4, v[3:4]
	v_add_u32_e32 v4, 0x1fe, v51
	global_store_dwordx2 v[0:1], v[15:16], off
	v_lshlrev_b64 v[0:1], 3, v[19:20]
	;; [unrolled: 16-line block ×5, first 2 shown]
	v_mad_u64_u32 v[4:5], s[0:1], s2, v6, 0
	v_add_co_u32_e32 v0, vcc, v21, v0
	v_addc_co_u32_e32 v1, vcc, v22, v1, vcc
	global_store_dwordx2 v[0:1], v[38:39], off
	v_lshlrev_b64 v[0:1], 3, v[2:3]
	v_mov_b32_e32 v2, v5
	v_mad_u64_u32 v[2:3], s[0:1], s3, v6, v[2:3]
	v_add_co_u32_e32 v0, vcc, v21, v0
	v_addc_co_u32_e32 v1, vcc, v22, v1, vcc
	v_mov_b32_e32 v5, v2
	global_store_dwordx2 v[0:1], v[40:41], off
	v_lshlrev_b64 v[0:1], 3, v[4:5]
	v_add_u32_e32 v4, 0x451, v51
	v_mad_u64_u32 v[2:3], s[0:1], s2, v4, 0
	v_add_u32_e32 v6, 0x4a6, v51
	v_add_co_u32_e32 v0, vcc, v21, v0
	v_mad_u64_u32 v[3:4], s[0:1], s3, v4, v[3:4]
	v_mad_u64_u32 v[4:5], s[0:1], s2, v6, 0
	v_addc_co_u32_e32 v1, vcc, v22, v1, vcc
	global_store_dwordx2 v[0:1], v[42:43], off
	v_lshlrev_b64 v[0:1], 3, v[2:3]
	v_mov_b32_e32 v2, v5
	v_mad_u64_u32 v[2:3], s[0:1], s3, v6, v[2:3]
	v_add_co_u32_e32 v0, vcc, v21, v0
	v_addc_co_u32_e32 v1, vcc, v22, v1, vcc
	v_mov_b32_e32 v5, v2
	global_store_dwordx2 v[0:1], v[44:45], off
	v_lshlrev_b64 v[0:1], 3, v[4:5]
	v_add_u32_e32 v4, 0x4fb, v51
	v_mad_u64_u32 v[2:3], s[0:1], s2, v4, 0
	v_add_u32_e32 v6, 0x550, v51
	v_add_co_u32_e32 v0, vcc, v21, v0
	v_mad_u64_u32 v[3:4], s[0:1], s3, v4, v[3:4]
	v_mad_u64_u32 v[4:5], s[0:1], s2, v6, 0
	v_add_f32_e32 v48, v48, v189
	v_fmac_f32_e32 v190, 0xbf1a4643, v28
	v_addc_co_u32_e32 v1, vcc, v22, v1, vcc
	v_add_f32_e32 v48, v48, v190
	v_fmac_f32_e32 v191, 0xbf7ba420, v30
	global_store_dwordx2 v[0:1], v[46:47], off
	v_lshlrev_b64 v[0:1], 3, v[2:3]
	v_mov_b32_e32 v2, v5
	v_add_f32_e32 v48, v48, v191
	v_fmac_f32_e32 v192, 0xbf59a7d5, v31
	v_mad_u64_u32 v[2:3], s[0:1], s3, v6, v[2:3]
	v_add_f32_e32 v48, v48, v192
	v_fmac_f32_e32 v193, 0xbe8c1d8e, v26
	v_add_f32_e32 v48, v48, v193
	v_fmac_f32_e32 v194, 0x3ee437d1, v29
	;; [unrolled: 2-line block ×3, first 2 shown]
	v_add_co_u32_e32 v0, vcc, v21, v0
	v_add_f32_e32 v48, v48, v197
	v_addc_co_u32_e32 v1, vcc, v22, v1, vcc
	v_mov_b32_e32 v5, v2
	global_store_dwordx2 v[0:1], v[48:49], off
	v_lshlrev_b64 v[0:1], 3, v[4:5]
	v_add_co_u32_e32 v0, vcc, v21, v0
	v_addc_co_u32_e32 v1, vcc, v22, v1, vcc
	global_store_dwordx2 v[0:1], v[17:18], off
.LBB0_23:
	s_endpgm
	.section	.rodata,"a",@progbits
	.p2align	6, 0x0
	.amdhsa_kernel fft_rtc_fwd_len1445_factors_17_5_17_wgs_85_tpt_85_halfLds_sp_op_CI_CI_sbrr_dirReg
		.amdhsa_group_segment_fixed_size 0
		.amdhsa_private_segment_fixed_size 0
		.amdhsa_kernarg_size 104
		.amdhsa_user_sgpr_count 6
		.amdhsa_user_sgpr_private_segment_buffer 1
		.amdhsa_user_sgpr_dispatch_ptr 0
		.amdhsa_user_sgpr_queue_ptr 0
		.amdhsa_user_sgpr_kernarg_segment_ptr 1
		.amdhsa_user_sgpr_dispatch_id 0
		.amdhsa_user_sgpr_flat_scratch_init 0
		.amdhsa_user_sgpr_private_segment_size 0
		.amdhsa_uses_dynamic_stack 0
		.amdhsa_system_sgpr_private_segment_wavefront_offset 0
		.amdhsa_system_sgpr_workgroup_id_x 1
		.amdhsa_system_sgpr_workgroup_id_y 0
		.amdhsa_system_sgpr_workgroup_id_z 0
		.amdhsa_system_sgpr_workgroup_info 0
		.amdhsa_system_vgpr_workitem_id 0
		.amdhsa_next_free_vgpr 200
		.amdhsa_next_free_sgpr 32
		.amdhsa_reserve_vcc 1
		.amdhsa_reserve_flat_scratch 0
		.amdhsa_float_round_mode_32 0
		.amdhsa_float_round_mode_16_64 0
		.amdhsa_float_denorm_mode_32 3
		.amdhsa_float_denorm_mode_16_64 3
		.amdhsa_dx10_clamp 1
		.amdhsa_ieee_mode 1
		.amdhsa_fp16_overflow 0
		.amdhsa_exception_fp_ieee_invalid_op 0
		.amdhsa_exception_fp_denorm_src 0
		.amdhsa_exception_fp_ieee_div_zero 0
		.amdhsa_exception_fp_ieee_overflow 0
		.amdhsa_exception_fp_ieee_underflow 0
		.amdhsa_exception_fp_ieee_inexact 0
		.amdhsa_exception_int_div_zero 0
	.end_amdhsa_kernel
	.text
.Lfunc_end0:
	.size	fft_rtc_fwd_len1445_factors_17_5_17_wgs_85_tpt_85_halfLds_sp_op_CI_CI_sbrr_dirReg, .Lfunc_end0-fft_rtc_fwd_len1445_factors_17_5_17_wgs_85_tpt_85_halfLds_sp_op_CI_CI_sbrr_dirReg
                                        ; -- End function
	.section	.AMDGPU.csdata,"",@progbits
; Kernel info:
; codeLenInByte = 16560
; NumSgprs: 36
; NumVgprs: 200
; ScratchSize: 0
; MemoryBound: 0
; FloatMode: 240
; IeeeMode: 1
; LDSByteSize: 0 bytes/workgroup (compile time only)
; SGPRBlocks: 4
; VGPRBlocks: 49
; NumSGPRsForWavesPerEU: 36
; NumVGPRsForWavesPerEU: 200
; Occupancy: 1
; WaveLimiterHint : 1
; COMPUTE_PGM_RSRC2:SCRATCH_EN: 0
; COMPUTE_PGM_RSRC2:USER_SGPR: 6
; COMPUTE_PGM_RSRC2:TRAP_HANDLER: 0
; COMPUTE_PGM_RSRC2:TGID_X_EN: 1
; COMPUTE_PGM_RSRC2:TGID_Y_EN: 0
; COMPUTE_PGM_RSRC2:TGID_Z_EN: 0
; COMPUTE_PGM_RSRC2:TIDIG_COMP_CNT: 0
	.type	__hip_cuid_ce6092ac355ed50f,@object ; @__hip_cuid_ce6092ac355ed50f
	.section	.bss,"aw",@nobits
	.globl	__hip_cuid_ce6092ac355ed50f
__hip_cuid_ce6092ac355ed50f:
	.byte	0                               ; 0x0
	.size	__hip_cuid_ce6092ac355ed50f, 1

	.ident	"AMD clang version 19.0.0git (https://github.com/RadeonOpenCompute/llvm-project roc-6.4.0 25133 c7fe45cf4b819c5991fe208aaa96edf142730f1d)"
	.section	".note.GNU-stack","",@progbits
	.addrsig
	.addrsig_sym __hip_cuid_ce6092ac355ed50f
	.amdgpu_metadata
---
amdhsa.kernels:
  - .args:
      - .actual_access:  read_only
        .address_space:  global
        .offset:         0
        .size:           8
        .value_kind:     global_buffer
      - .offset:         8
        .size:           8
        .value_kind:     by_value
      - .actual_access:  read_only
        .address_space:  global
        .offset:         16
        .size:           8
        .value_kind:     global_buffer
      - .actual_access:  read_only
        .address_space:  global
        .offset:         24
        .size:           8
        .value_kind:     global_buffer
      - .actual_access:  read_only
        .address_space:  global
        .offset:         32
        .size:           8
        .value_kind:     global_buffer
      - .offset:         40
        .size:           8
        .value_kind:     by_value
      - .actual_access:  read_only
        .address_space:  global
        .offset:         48
        .size:           8
        .value_kind:     global_buffer
      - .actual_access:  read_only
        .address_space:  global
        .offset:         56
        .size:           8
        .value_kind:     global_buffer
      - .offset:         64
        .size:           4
        .value_kind:     by_value
      - .actual_access:  read_only
        .address_space:  global
        .offset:         72
        .size:           8
        .value_kind:     global_buffer
      - .actual_access:  read_only
        .address_space:  global
        .offset:         80
        .size:           8
        .value_kind:     global_buffer
      - .actual_access:  read_only
        .address_space:  global
        .offset:         88
        .size:           8
        .value_kind:     global_buffer
      - .actual_access:  write_only
        .address_space:  global
        .offset:         96
        .size:           8
        .value_kind:     global_buffer
    .group_segment_fixed_size: 0
    .kernarg_segment_align: 8
    .kernarg_segment_size: 104
    .language:       OpenCL C
    .language_version:
      - 2
      - 0
    .max_flat_workgroup_size: 85
    .name:           fft_rtc_fwd_len1445_factors_17_5_17_wgs_85_tpt_85_halfLds_sp_op_CI_CI_sbrr_dirReg
    .private_segment_fixed_size: 0
    .sgpr_count:     36
    .sgpr_spill_count: 0
    .symbol:         fft_rtc_fwd_len1445_factors_17_5_17_wgs_85_tpt_85_halfLds_sp_op_CI_CI_sbrr_dirReg.kd
    .uniform_work_group_size: 1
    .uses_dynamic_stack: false
    .vgpr_count:     200
    .vgpr_spill_count: 0
    .wavefront_size: 64
amdhsa.target:   amdgcn-amd-amdhsa--gfx906
amdhsa.version:
  - 1
  - 2
...

	.end_amdgpu_metadata
